;; amdgpu-corpus repo=ROCm/rocFFT kind=compiled arch=gfx1201 opt=O3
	.text
	.amdgcn_target "amdgcn-amd-amdhsa--gfx1201"
	.amdhsa_code_object_version 6
	.protected	fft_rtc_fwd_len1859_factors_13_11_13_wgs_169_tpt_169_halfLds_dp_ip_CI_sbrr_dirReg ; -- Begin function fft_rtc_fwd_len1859_factors_13_11_13_wgs_169_tpt_169_halfLds_dp_ip_CI_sbrr_dirReg
	.globl	fft_rtc_fwd_len1859_factors_13_11_13_wgs_169_tpt_169_halfLds_dp_ip_CI_sbrr_dirReg
	.p2align	8
	.type	fft_rtc_fwd_len1859_factors_13_11_13_wgs_169_tpt_169_halfLds_dp_ip_CI_sbrr_dirReg,@function
fft_rtc_fwd_len1859_factors_13_11_13_wgs_169_tpt_169_halfLds_dp_ip_CI_sbrr_dirReg: ; @fft_rtc_fwd_len1859_factors_13_11_13_wgs_169_tpt_169_halfLds_dp_ip_CI_sbrr_dirReg
; %bb.0:
	s_clause 0x2
	s_load_b64 s[12:13], s[0:1], 0x18
	s_load_b128 s[4:7], s[0:1], 0x0
	s_load_b64 s[10:11], s[0:1], 0x50
	v_mul_u32_u24_e32 v1, 0x184, v0
	v_mov_b32_e32 v3, 0
	s_delay_alu instid0(VALU_DEP_2) | instskip(NEXT) | instid1(VALU_DEP_1)
	v_lshrrev_b32_e32 v1, 16, v1
	v_add_nc_u32_e32 v5, ttmp9, v1
	v_mov_b32_e32 v1, 0
	v_mov_b32_e32 v2, 0
	;; [unrolled: 1-line block ×3, first 2 shown]
	s_wait_kmcnt 0x0
	s_load_b64 s[8:9], s[12:13], 0x0
	v_cmp_lt_u64_e64 s2, s[6:7], 2
	s_delay_alu instid0(VALU_DEP_1)
	s_and_b32 vcc_lo, exec_lo, s2
	s_cbranch_vccnz .LBB0_8
; %bb.1:
	s_load_b64 s[2:3], s[0:1], 0x10
	v_mov_b32_e32 v1, 0
	v_mov_b32_e32 v2, 0
	s_add_nc_u64 s[14:15], s[12:13], 8
	s_mov_b64 s[16:17], 1
	s_wait_kmcnt 0x0
	s_add_nc_u64 s[18:19], s[2:3], 8
	s_mov_b32 s3, 0
.LBB0_2:                                ; =>This Inner Loop Header: Depth=1
	s_load_b64 s[20:21], s[18:19], 0x0
                                        ; implicit-def: $vgpr7_vgpr8
	s_mov_b32 s2, exec_lo
	s_wait_kmcnt 0x0
	v_or_b32_e32 v4, s21, v6
	s_delay_alu instid0(VALU_DEP_1)
	v_cmpx_ne_u64_e32 0, v[3:4]
	s_wait_alu 0xfffe
	s_xor_b32 s22, exec_lo, s2
	s_cbranch_execz .LBB0_4
; %bb.3:                                ;   in Loop: Header=BB0_2 Depth=1
	s_cvt_f32_u32 s2, s20
	s_cvt_f32_u32 s23, s21
	s_sub_nc_u64 s[26:27], 0, s[20:21]
	s_wait_alu 0xfffe
	s_delay_alu instid0(SALU_CYCLE_1) | instskip(SKIP_1) | instid1(SALU_CYCLE_2)
	s_fmamk_f32 s2, s23, 0x4f800000, s2
	s_wait_alu 0xfffe
	v_s_rcp_f32 s2, s2
	s_delay_alu instid0(TRANS32_DEP_1) | instskip(SKIP_1) | instid1(SALU_CYCLE_2)
	s_mul_f32 s2, s2, 0x5f7ffffc
	s_wait_alu 0xfffe
	s_mul_f32 s23, s2, 0x2f800000
	s_wait_alu 0xfffe
	s_delay_alu instid0(SALU_CYCLE_2) | instskip(SKIP_1) | instid1(SALU_CYCLE_2)
	s_trunc_f32 s23, s23
	s_wait_alu 0xfffe
	s_fmamk_f32 s2, s23, 0xcf800000, s2
	s_cvt_u32_f32 s25, s23
	s_wait_alu 0xfffe
	s_delay_alu instid0(SALU_CYCLE_1) | instskip(SKIP_1) | instid1(SALU_CYCLE_2)
	s_cvt_u32_f32 s24, s2
	s_wait_alu 0xfffe
	s_mul_u64 s[28:29], s[26:27], s[24:25]
	s_wait_alu 0xfffe
	s_mul_hi_u32 s31, s24, s29
	s_mul_i32 s30, s24, s29
	s_mul_hi_u32 s2, s24, s28
	s_mul_i32 s33, s25, s28
	s_wait_alu 0xfffe
	s_add_nc_u64 s[30:31], s[2:3], s[30:31]
	s_mul_hi_u32 s23, s25, s28
	s_mul_hi_u32 s34, s25, s29
	s_add_co_u32 s2, s30, s33
	s_wait_alu 0xfffe
	s_add_co_ci_u32 s2, s31, s23
	s_mul_i32 s28, s25, s29
	s_add_co_ci_u32 s29, s34, 0
	s_wait_alu 0xfffe
	s_add_nc_u64 s[28:29], s[2:3], s[28:29]
	s_wait_alu 0xfffe
	v_add_co_u32 v4, s2, s24, s28
	s_delay_alu instid0(VALU_DEP_1) | instskip(SKIP_1) | instid1(VALU_DEP_1)
	s_cmp_lg_u32 s2, 0
	s_add_co_ci_u32 s25, s25, s29
	v_readfirstlane_b32 s24, v4
	s_wait_alu 0xfffe
	s_delay_alu instid0(VALU_DEP_1)
	s_mul_u64 s[26:27], s[26:27], s[24:25]
	s_wait_alu 0xfffe
	s_mul_hi_u32 s29, s24, s27
	s_mul_i32 s28, s24, s27
	s_mul_hi_u32 s2, s24, s26
	s_mul_i32 s30, s25, s26
	s_wait_alu 0xfffe
	s_add_nc_u64 s[28:29], s[2:3], s[28:29]
	s_mul_hi_u32 s23, s25, s26
	s_mul_hi_u32 s24, s25, s27
	s_wait_alu 0xfffe
	s_add_co_u32 s2, s28, s30
	s_add_co_ci_u32 s2, s29, s23
	s_mul_i32 s26, s25, s27
	s_add_co_ci_u32 s27, s24, 0
	s_wait_alu 0xfffe
	s_add_nc_u64 s[26:27], s[2:3], s[26:27]
	s_wait_alu 0xfffe
	v_add_co_u32 v4, s2, v4, s26
	s_delay_alu instid0(VALU_DEP_1) | instskip(SKIP_1) | instid1(VALU_DEP_1)
	s_cmp_lg_u32 s2, 0
	s_add_co_ci_u32 s2, s25, s27
	v_mul_hi_u32 v13, v5, v4
	s_wait_alu 0xfffe
	v_mad_co_u64_u32 v[7:8], null, v5, s2, 0
	v_mad_co_u64_u32 v[9:10], null, v6, v4, 0
	;; [unrolled: 1-line block ×3, first 2 shown]
	s_delay_alu instid0(VALU_DEP_3) | instskip(SKIP_1) | instid1(VALU_DEP_4)
	v_add_co_u32 v4, vcc_lo, v13, v7
	s_wait_alu 0xfffd
	v_add_co_ci_u32_e32 v7, vcc_lo, 0, v8, vcc_lo
	s_delay_alu instid0(VALU_DEP_2) | instskip(SKIP_1) | instid1(VALU_DEP_2)
	v_add_co_u32 v4, vcc_lo, v4, v9
	s_wait_alu 0xfffd
	v_add_co_ci_u32_e32 v4, vcc_lo, v7, v10, vcc_lo
	s_wait_alu 0xfffd
	v_add_co_ci_u32_e32 v7, vcc_lo, 0, v12, vcc_lo
	s_delay_alu instid0(VALU_DEP_2) | instskip(SKIP_1) | instid1(VALU_DEP_2)
	v_add_co_u32 v4, vcc_lo, v4, v11
	s_wait_alu 0xfffd
	v_add_co_ci_u32_e32 v9, vcc_lo, 0, v7, vcc_lo
	s_delay_alu instid0(VALU_DEP_2) | instskip(SKIP_1) | instid1(VALU_DEP_3)
	v_mul_lo_u32 v10, s21, v4
	v_mad_co_u64_u32 v[7:8], null, s20, v4, 0
	v_mul_lo_u32 v11, s20, v9
	s_delay_alu instid0(VALU_DEP_2) | instskip(NEXT) | instid1(VALU_DEP_2)
	v_sub_co_u32 v7, vcc_lo, v5, v7
	v_add3_u32 v8, v8, v11, v10
	s_delay_alu instid0(VALU_DEP_1) | instskip(SKIP_1) | instid1(VALU_DEP_1)
	v_sub_nc_u32_e32 v10, v6, v8
	s_wait_alu 0xfffd
	v_subrev_co_ci_u32_e64 v10, s2, s21, v10, vcc_lo
	v_add_co_u32 v11, s2, v4, 2
	s_wait_alu 0xf1ff
	v_add_co_ci_u32_e64 v12, s2, 0, v9, s2
	v_sub_co_u32 v13, s2, v7, s20
	v_sub_co_ci_u32_e32 v8, vcc_lo, v6, v8, vcc_lo
	s_wait_alu 0xf1ff
	v_subrev_co_ci_u32_e64 v10, s2, 0, v10, s2
	s_delay_alu instid0(VALU_DEP_3) | instskip(NEXT) | instid1(VALU_DEP_3)
	v_cmp_le_u32_e32 vcc_lo, s20, v13
	v_cmp_eq_u32_e64 s2, s21, v8
	s_wait_alu 0xfffd
	v_cndmask_b32_e64 v13, 0, -1, vcc_lo
	v_cmp_le_u32_e32 vcc_lo, s21, v10
	s_wait_alu 0xfffd
	v_cndmask_b32_e64 v14, 0, -1, vcc_lo
	v_cmp_le_u32_e32 vcc_lo, s20, v7
	;; [unrolled: 3-line block ×3, first 2 shown]
	s_wait_alu 0xfffd
	v_cndmask_b32_e64 v15, 0, -1, vcc_lo
	v_cmp_eq_u32_e32 vcc_lo, s21, v10
	s_wait_alu 0xf1ff
	s_delay_alu instid0(VALU_DEP_2)
	v_cndmask_b32_e64 v7, v15, v7, s2
	s_wait_alu 0xfffd
	v_cndmask_b32_e32 v10, v14, v13, vcc_lo
	v_add_co_u32 v13, vcc_lo, v4, 1
	s_wait_alu 0xfffd
	v_add_co_ci_u32_e32 v14, vcc_lo, 0, v9, vcc_lo
	s_delay_alu instid0(VALU_DEP_3) | instskip(SKIP_2) | instid1(VALU_DEP_3)
	v_cmp_ne_u32_e32 vcc_lo, 0, v10
	s_wait_alu 0xfffd
	v_cndmask_b32_e32 v10, v13, v11, vcc_lo
	v_cndmask_b32_e32 v8, v14, v12, vcc_lo
	v_cmp_ne_u32_e32 vcc_lo, 0, v7
	s_wait_alu 0xfffd
	s_delay_alu instid0(VALU_DEP_2)
	v_dual_cndmask_b32 v7, v4, v10 :: v_dual_cndmask_b32 v8, v9, v8
.LBB0_4:                                ;   in Loop: Header=BB0_2 Depth=1
	s_wait_alu 0xfffe
	s_and_not1_saveexec_b32 s2, s22
	s_cbranch_execz .LBB0_6
; %bb.5:                                ;   in Loop: Header=BB0_2 Depth=1
	v_cvt_f32_u32_e32 v4, s20
	s_sub_co_i32 s22, 0, s20
	s_delay_alu instid0(VALU_DEP_1) | instskip(NEXT) | instid1(TRANS32_DEP_1)
	v_rcp_iflag_f32_e32 v4, v4
	v_mul_f32_e32 v4, 0x4f7ffffe, v4
	s_delay_alu instid0(VALU_DEP_1) | instskip(SKIP_1) | instid1(VALU_DEP_1)
	v_cvt_u32_f32_e32 v4, v4
	s_wait_alu 0xfffe
	v_mul_lo_u32 v7, s22, v4
	s_delay_alu instid0(VALU_DEP_1) | instskip(NEXT) | instid1(VALU_DEP_1)
	v_mul_hi_u32 v7, v4, v7
	v_add_nc_u32_e32 v4, v4, v7
	s_delay_alu instid0(VALU_DEP_1) | instskip(NEXT) | instid1(VALU_DEP_1)
	v_mul_hi_u32 v4, v5, v4
	v_mul_lo_u32 v7, v4, s20
	v_add_nc_u32_e32 v8, 1, v4
	s_delay_alu instid0(VALU_DEP_2) | instskip(NEXT) | instid1(VALU_DEP_1)
	v_sub_nc_u32_e32 v7, v5, v7
	v_subrev_nc_u32_e32 v9, s20, v7
	v_cmp_le_u32_e32 vcc_lo, s20, v7
	s_wait_alu 0xfffd
	s_delay_alu instid0(VALU_DEP_2) | instskip(NEXT) | instid1(VALU_DEP_1)
	v_dual_cndmask_b32 v7, v7, v9 :: v_dual_cndmask_b32 v4, v4, v8
	v_cmp_le_u32_e32 vcc_lo, s20, v7
	s_delay_alu instid0(VALU_DEP_2) | instskip(SKIP_1) | instid1(VALU_DEP_1)
	v_add_nc_u32_e32 v8, 1, v4
	s_wait_alu 0xfffd
	v_dual_cndmask_b32 v7, v4, v8 :: v_dual_mov_b32 v8, v3
.LBB0_6:                                ;   in Loop: Header=BB0_2 Depth=1
	s_wait_alu 0xfffe
	s_or_b32 exec_lo, exec_lo, s2
	s_load_b64 s[22:23], s[14:15], 0x0
	s_delay_alu instid0(VALU_DEP_1)
	v_mul_lo_u32 v4, v8, s20
	v_mul_lo_u32 v11, v7, s21
	v_mad_co_u64_u32 v[9:10], null, v7, s20, 0
	s_add_nc_u64 s[16:17], s[16:17], 1
	s_add_nc_u64 s[14:15], s[14:15], 8
	s_wait_alu 0xfffe
	v_cmp_ge_u64_e64 s2, s[16:17], s[6:7]
	s_add_nc_u64 s[18:19], s[18:19], 8
	s_delay_alu instid0(VALU_DEP_2) | instskip(NEXT) | instid1(VALU_DEP_3)
	v_add3_u32 v4, v10, v11, v4
	v_sub_co_u32 v5, vcc_lo, v5, v9
	s_wait_alu 0xfffd
	s_delay_alu instid0(VALU_DEP_2) | instskip(SKIP_3) | instid1(VALU_DEP_2)
	v_sub_co_ci_u32_e32 v4, vcc_lo, v6, v4, vcc_lo
	s_and_b32 vcc_lo, exec_lo, s2
	s_wait_kmcnt 0x0
	v_mul_lo_u32 v6, s23, v5
	v_mul_lo_u32 v4, s22, v4
	v_mad_co_u64_u32 v[1:2], null, s22, v5, v[1:2]
	s_delay_alu instid0(VALU_DEP_1)
	v_add3_u32 v2, v6, v2, v4
	s_wait_alu 0xfffe
	s_cbranch_vccnz .LBB0_9
; %bb.7:                                ;   in Loop: Header=BB0_2 Depth=1
	v_dual_mov_b32 v5, v7 :: v_dual_mov_b32 v6, v8
	s_branch .LBB0_2
.LBB0_8:
	v_dual_mov_b32 v8, v6 :: v_dual_mov_b32 v7, v5
.LBB0_9:
	s_lshl_b64 s[2:3], s[6:7], 3
	v_mul_hi_u32 v3, 0x183c978, v0
	s_wait_alu 0xfffe
	s_add_nc_u64 s[2:3], s[12:13], s[2:3]
	s_load_b64 s[0:1], s[0:1], 0x20
	s_load_b64 s[2:3], s[2:3], 0x0
                                        ; implicit-def: $vgpr12_vgpr13
                                        ; implicit-def: $vgpr16_vgpr17
                                        ; implicit-def: $vgpr24_vgpr25
                                        ; implicit-def: $vgpr28_vgpr29
                                        ; implicit-def: $vgpr32_vgpr33
                                        ; implicit-def: $vgpr40_vgpr41
                                        ; implicit-def: $vgpr36_vgpr37
                                        ; implicit-def: $vgpr56_vgpr57
                                        ; implicit-def: $vgpr44_vgpr45
                                        ; implicit-def: $vgpr52_vgpr53
                                        ; implicit-def: $vgpr48_vgpr49
                                        ; implicit-def: $vgpr20_vgpr21
	s_delay_alu instid0(VALU_DEP_1) | instskip(NEXT) | instid1(VALU_DEP_1)
	v_mul_u32_u24_e32 v3, 0xa9, v3
	v_sub_nc_u32_e32 v120, v0, v3
	s_delay_alu instid0(VALU_DEP_1)
	v_cmp_gt_u32_e32 vcc_lo, 0x8f, v120
	v_add_nc_u32_e32 v119, 0x8f, v120
	v_add_nc_u32_e32 v118, 0x11e, v120
	v_add_nc_u32_e32 v117, 0x1ad, v120
	s_wait_kmcnt 0x0
	v_cmp_gt_u64_e64 s0, s[0:1], v[7:8]
	v_mul_lo_u32 v3, s2, v8
	v_mul_lo_u32 v4, s3, v7
	v_mad_co_u64_u32 v[0:1], null, s2, v7, v[1:2]
	v_add_nc_u32_e32 v116, 0x23c, v120
	v_add_nc_u32_e32 v115, 0x2cb, v120
	;; [unrolled: 1-line block ×6, first 2 shown]
	v_add3_u32 v1, v4, v1, v3
	v_add_nc_u32_e32 v110, 0x596, v120
	v_add_nc_u32_e32 v109, 0x625, v120
	v_add_nc_u32_e32 v108, 0x6b4, v120
	s_and_b32 s33, s0, vcc_lo
	v_lshlrev_b64_e32 v[78:79], 4, v[0:1]
                                        ; implicit-def: $vgpr8_vgpr9
	s_and_saveexec_b32 s1, s33
	s_cbranch_execz .LBB0_11
; %bb.10:
	v_mad_co_u64_u32 v[0:1], null, s8, v120, 0
	v_mad_co_u64_u32 v[2:3], null, s8, v119, 0
	;; [unrolled: 1-line block ×4, first 2 shown]
	v_add_co_u32 v22, s0, s10, v78
	s_delay_alu instid0(VALU_DEP_4) | instskip(NEXT) | instid1(VALU_DEP_4)
	v_mad_co_u64_u32 v[8:9], null, s9, v120, v[1:2]
	v_mov_b32_e32 v1, v5
	v_mad_co_u64_u32 v[9:10], null, s9, v119, v[3:4]
	v_mov_b32_e32 v5, v7
	s_wait_alu 0xf1ff
	v_add_co_ci_u32_e64 v23, s0, s11, v79, s0
	v_mad_co_u64_u32 v[10:11], null, s9, v118, v[1:2]
	v_mov_b32_e32 v1, v8
	v_mad_co_u64_u32 v[7:8], null, s9, v117, v[5:6]
	v_mov_b32_e32 v3, v9
	;; [unrolled: 2-line block ×3, first 2 shown]
	v_mad_co_u64_u32 v[10:11], null, s8, v115, 0
	v_lshlrev_b64_e32 v[0:1], 4, v[0:1]
	v_lshlrev_b64_e32 v[2:3], 4, v[2:3]
	s_delay_alu instid0(VALU_DEP_4)
	v_lshlrev_b64_e32 v[4:5], 4, v[4:5]
	v_lshlrev_b64_e32 v[6:7], 4, v[6:7]
	v_mad_co_u64_u32 v[16:17], null, s8, v113, 0
	v_mad_co_u64_u32 v[12:13], null, s9, v116, v[9:10]
	v_add_co_u32 v0, s0, v22, v0
	s_wait_alu 0xf1ff
	v_add_co_ci_u32_e64 v1, s0, v23, v1, s0
	v_add_co_u32 v2, s0, v22, v2
	s_delay_alu instid0(VALU_DEP_4)
	v_mad_co_u64_u32 v[13:14], null, s9, v115, v[11:12]
	s_wait_alu 0xf1ff
	v_add_co_ci_u32_e64 v3, s0, v23, v3, s0
	v_add_co_u32 v4, s0, v22, v4
	v_mad_co_u64_u32 v[14:15], null, s8, v114, 0
	s_wait_alu 0xf1ff
	v_add_co_ci_u32_e64 v5, s0, v23, v5, s0
	v_add_co_u32 v6, s0, v22, v6
	v_mov_b32_e32 v9, v12
	v_mov_b32_e32 v11, v13
	s_wait_alu 0xf1ff
	v_add_co_ci_u32_e64 v7, s0, v23, v7, s0
	s_clause 0x1
	global_load_b128 v[18:21], v[0:1], off
	global_load_b128 v[46:49], v[2:3], off
	v_lshlrev_b64_e32 v[1:2], 4, v[8:9]
	s_clause 0x1
	global_load_b128 v[50:53], v[4:5], off
	global_load_b128 v[42:45], v[6:7], off
	v_mov_b32_e32 v0, v15
	v_lshlrev_b64_e32 v[4:5], 4, v[10:11]
	v_mov_b32_e32 v3, v17
	v_mad_co_u64_u32 v[10:11], null, s8, v110, 0
	s_delay_alu instid0(VALU_DEP_4) | instskip(NEXT) | instid1(VALU_DEP_3)
	v_mad_co_u64_u32 v[6:7], null, s9, v114, v[0:1]
	v_mad_co_u64_u32 v[7:8], null, s9, v113, v[3:4]
	;; [unrolled: 1-line block ×3, first 2 shown]
	v_add_co_u32 v0, s0, v22, v1
	s_wait_alu 0xf1ff
	v_add_co_ci_u32_e64 v1, s0, v23, v2, s0
	v_add_co_u32 v2, s0, v22, v4
	s_delay_alu instid0(VALU_DEP_4) | instskip(SKIP_3) | instid1(VALU_DEP_3)
	v_dual_mov_b32 v4, v9 :: v_dual_mov_b32 v15, v6
	s_wait_alu 0xf1ff
	v_add_co_ci_u32_e64 v3, s0, v23, v5, s0
	v_mov_b32_e32 v17, v7
	v_mad_co_u64_u32 v[4:5], null, s9, v112, v[4:5]
	v_mad_co_u64_u32 v[5:6], null, s8, v111, 0
	s_clause 0x1
	global_load_b128 v[54:57], v[0:1], off
	global_load_b128 v[34:37], v[2:3], off
	v_lshlrev_b64_e32 v[0:1], 4, v[14:15]
	v_lshlrev_b64_e32 v[2:3], 4, v[16:17]
	v_mad_co_u64_u32 v[12:13], null, s8, v109, 0
	v_dual_mov_b32 v9, v4 :: v_dual_mov_b32 v4, v6
	s_delay_alu instid0(VALU_DEP_4)
	v_add_co_u32 v0, s0, v22, v0
	v_mov_b32_e32 v6, v11
	s_wait_alu 0xf1ff
	v_add_co_ci_u32_e64 v1, s0, v23, v1, s0
	v_add_co_u32 v2, s0, v22, v2
	s_wait_alu 0xf1ff
	v_add_co_ci_u32_e64 v3, s0, v23, v3, s0
	v_mad_co_u64_u32 v[14:15], null, s9, v111, v[4:5]
	v_mad_co_u64_u32 v[15:16], null, s9, v110, v[6:7]
	;; [unrolled: 1-line block ×3, first 2 shown]
	s_clause 0x1
	global_load_b128 v[38:41], v[0:1], off
	global_load_b128 v[30:33], v[2:3], off
	v_lshlrev_b64_e32 v[1:2], 4, v[8:9]
	v_mov_b32_e32 v0, v13
	v_dual_mov_b32 v6, v14 :: v_dual_mov_b32 v11, v15
	s_delay_alu instid0(VALU_DEP_2) | instskip(SKIP_2) | instid1(VALU_DEP_4)
	v_mad_co_u64_u32 v[3:4], null, s9, v109, v[0:1]
	v_mov_b32_e32 v0, v17
	v_add_co_u32 v1, s0, v22, v1
	v_lshlrev_b64_e32 v[4:5], 4, v[5:6]
	s_wait_alu 0xf1ff
	v_add_co_ci_u32_e64 v2, s0, v23, v2, s0
	s_delay_alu instid0(VALU_DEP_3)
	v_mad_co_u64_u32 v[6:7], null, s9, v108, v[0:1]
	v_lshlrev_b64_e32 v[7:8], 4, v[10:11]
	v_mov_b32_e32 v13, v3
	v_add_co_u32 v3, s0, v22, v4
	s_wait_alu 0xf1ff
	v_add_co_ci_u32_e64 v4, s0, v23, v5, s0
	v_mov_b32_e32 v17, v6
	v_lshlrev_b64_e32 v[9:10], 4, v[12:13]
	v_add_co_u32 v5, s0, v22, v7
	s_wait_alu 0xf1ff
	v_add_co_ci_u32_e64 v6, s0, v23, v8, s0
	v_lshlrev_b64_e32 v[7:8], 4, v[16:17]
	s_delay_alu instid0(VALU_DEP_4) | instskip(SKIP_2) | instid1(VALU_DEP_3)
	v_add_co_u32 v9, s0, v22, v9
	s_wait_alu 0xf1ff
	v_add_co_ci_u32_e64 v10, s0, v23, v10, s0
	v_add_co_u32 v7, s0, v22, v7
	s_wait_alu 0xf1ff
	v_add_co_ci_u32_e64 v8, s0, v23, v8, s0
	s_clause 0x4
	global_load_b128 v[26:29], v[1:2], off
	global_load_b128 v[22:25], v[3:4], off
	;; [unrolled: 1-line block ×5, first 2 shown]
.LBB0_11:
	s_wait_alu 0xfffe
	s_or_b32 exec_lo, exec_lo, s1
	s_wait_loadcnt 0x0
	v_add_f64_e32 v[62:63], v[6:7], v[46:47]
	s_mov_b32 s0, 0xe00740e9
	s_mov_b32 s16, 0x1ea71119
	s_mov_b32 s1, 0x3fec55a7
	s_mov_b32 s17, 0x3fe22d96
	v_add_f64_e64 v[68:69], v[48:49], -v[8:9]
	v_add_f64_e32 v[64:65], v[10:11], v[50:51]
	s_mov_b32 s18, 0x4267c47c
	s_mov_b32 s20, 0x42a4c3d2
	s_mov_b32 s14, 0xb2365da1
	s_mov_b32 s19, 0xbfddbe06
	s_mov_b32 s21, 0xbfea55e2
	s_mov_b32 s15, 0xbfd6b1d8
	v_add_f64_e64 v[96:97], v[52:53], -v[12:13]
	v_add_f64_e32 v[58:59], v[14:15], v[42:43]
	s_mov_b32 s6, 0xebaa3ed8
	s_mov_b32 s24, 0x2ef20147
	;; [unrolled: 8-line block ×3, first 2 shown]
	s_mov_b32 s12, 0xd0032e0c
	s_mov_b32 s27, 0xbfefc445
	;; [unrolled: 1-line block ×4, first 2 shown]
	v_add_f64_e64 v[104:105], v[56:57], -v[24:25]
	s_mov_b32 s28, 0x24c2f84
	s_mov_b32 s29, 0x3fe5384d
	v_add_f64_e64 v[100:101], v[36:37], -v[28:29]
	s_mov_b32 s31, 0xbfe5384d
	s_mov_b32 s35, 0x3fefc445
	s_wait_alu 0xfffe
	s_mov_b32 s30, s28
	s_mov_b32 s34, s26
	;; [unrolled: 1-line block ×3, first 2 shown]
	v_mul_f64_e32 v[82:83], s[0:1], v[62:63]
	v_mul_f64_e32 v[76:77], s[16:17], v[62:63]
	s_mov_b32 s36, s18
	v_mul_f64_e32 v[88:89], s[16:17], v[64:65]
	v_mul_f64_e32 v[92:93], s[14:15], v[64:65]
	;; [unrolled: 1-line block ×6, first 2 shown]
	v_fma_f64 v[2:3], v[68:69], s[18:19], v[82:83]
	v_fma_f64 v[4:5], v[68:69], s[20:21], v[76:77]
	;; [unrolled: 1-line block ×8, first 2 shown]
	v_add_f64_e32 v[2:3], v[18:19], v[2:3]
	v_add_f64_e32 v[70:71], v[18:19], v[4:5]
	;; [unrolled: 1-line block ×3, first 2 shown]
	s_delay_alu instid0(VALU_DEP_3) | instskip(NEXT) | instid1(VALU_DEP_3)
	v_add_f64_e32 v[2:3], v[60:61], v[2:3]
	v_add_f64_e32 v[66:67], v[66:67], v[70:71]
	;; [unrolled: 1-line block ×3, first 2 shown]
	s_delay_alu instid0(VALU_DEP_4)
	v_mul_f64_e32 v[72:73], s[12:13], v[4:5]
	v_mul_f64_e32 v[74:75], s[6:7], v[4:5]
	v_add_f64_e32 v[2:3], v[80:81], v[2:3]
	v_add_f64_e32 v[80:81], v[86:87], v[66:67]
	v_add_f64_e64 v[86:87], v[40:41], -v[32:33]
	v_mul_f64_e32 v[66:67], s[2:3], v[60:61]
	v_mul_f64_e32 v[70:71], s[0:1], v[60:61]
	v_fma_f64 v[123:124], v[100:101], s[30:31], v[72:73]
	v_fma_f64 v[125:126], v[100:101], s[34:35], v[74:75]
	v_add_f64_e32 v[2:3], v[106:107], v[2:3]
	v_add_f64_e32 v[80:81], v[121:122], v[80:81]
	v_fma_f64 v[106:107], v[86:87], s[22:23], v[66:67]
	v_fma_f64 v[121:122], v[86:87], s[36:37], v[70:71]
	s_delay_alu instid0(VALU_DEP_4) | instskip(NEXT) | instid1(VALU_DEP_4)
	v_add_f64_e32 v[2:3], v[123:124], v[2:3]
	v_add_f64_e32 v[123:124], v[125:126], v[80:81]
	s_delay_alu instid0(VALU_DEP_2) | instskip(NEXT) | instid1(VALU_DEP_2)
	v_add_f64_e32 v[80:81], v[106:107], v[2:3]
	v_add_f64_e32 v[2:3], v[121:122], v[123:124]
	s_and_saveexec_b32 s38, vcc_lo
	s_cbranch_execz .LBB0_13
; %bb.12:
	v_add_f64_e32 v[106:107], v[46:47], v[18:19]
	v_mul_f64_e32 v[121:122], s[22:23], v[68:69]
	v_mul_f64_e32 v[123:124], s[30:31], v[68:69]
	;; [unrolled: 1-line block ×12, first 2 shown]
	s_mov_b32 s41, 0x3fedeba7
	s_mov_b32 s40, s24
	v_mul_f64_e32 v[149:150], s[20:21], v[102:103]
	v_mul_f64_e32 v[151:152], s[36:37], v[102:103]
	s_mov_b32 s43, 0x3fcea1e5
	s_mov_b32 s42, s22
	v_add_f64_e32 v[106:107], v[50:51], v[106:107]
	v_fma_f64 v[141:142], v[62:63], s[2:3], v[121:122]
	v_fma_f64 v[121:122], v[62:63], s[2:3], -v[121:122]
	v_fma_f64 v[143:144], v[62:63], s[12:13], v[123:124]
	v_fma_f64 v[123:124], v[62:63], s[12:13], -v[123:124]
	;; [unrolled: 2-line block ×4, first 2 shown]
	v_add_f64_e64 v[82:83], v[82:83], -v[129:130]
	v_add_f64_e64 v[68:69], v[76:77], -v[68:69]
	v_mul_f64_e32 v[76:77], s[22:23], v[102:103]
	v_mul_f64_e32 v[127:128], s[26:27], v[102:103]
	;; [unrolled: 1-line block ×4, first 2 shown]
	v_fma_f64 v[153:154], v[64:65], s[0:1], v[131:132]
	v_fma_f64 v[131:132], v[64:65], s[0:1], -v[131:132]
	v_fma_f64 v[155:156], v[64:65], s[6:7], v[133:134]
	v_fma_f64 v[133:134], v[64:65], s[6:7], -v[133:134]
	;; [unrolled: 2-line block ×4, first 2 shown]
	v_add_f64_e64 v[88:89], v[88:89], -v[96:97]
	v_add_f64_e64 v[92:93], v[92:93], -v[139:140]
	s_mov_b32 s41, 0x3fea55e2
	s_mov_b32 s40, s20
	v_fma_f64 v[163:164], v[58:59], s[0:1], v[151:152]
	s_wait_alu 0xfffe
	v_mul_f64_e32 v[161:162], s[40:41], v[104:105]
	v_fma_f64 v[151:152], v[58:59], s[0:1], -v[151:152]
	v_add_f64_e32 v[106:107], v[42:43], v[106:107]
	v_add_f64_e32 v[96:97], v[18:19], v[141:142]
	;; [unrolled: 1-line block ×11, first 2 shown]
	v_mul_f64_e32 v[68:69], s[24:25], v[104:105]
	v_mul_f64_e32 v[143:144], s[28:29], v[104:105]
	;; [unrolled: 1-line block ×5, first 2 shown]
	v_add_f64_e64 v[76:77], v[98:99], -v[76:77]
	v_add_f64_e64 v[94:95], v[94:95], -v[127:128]
	v_fma_f64 v[98:99], v[58:59], s[12:13], v[129:130]
	v_fma_f64 v[127:128], v[58:59], s[12:13], -v[129:130]
	v_fma_f64 v[129:130], v[58:59], s[16:17], v[149:150]
	v_fma_f64 v[149:150], v[58:59], s[16:17], -v[149:150]
	;; [unrolled: 2-line block ×3, first 2 shown]
	v_add_f64_e32 v[106:107], v[54:55], v[106:107]
	v_add_f64_e32 v[96:97], v[153:154], v[96:97]
	;; [unrolled: 1-line block ×11, first 2 shown]
	v_mul_f64_e32 v[88:89], s[24:25], v[100:101]
	v_mul_f64_e32 v[92:93], s[36:37], v[100:101]
	;; [unrolled: 1-line block ×4, first 2 shown]
	v_fma_f64 v[139:140], v[0:1], s[6:7], v[145:146]
	v_fma_f64 v[141:142], v[0:1], s[6:7], -v[145:146]
	v_fma_f64 v[145:146], v[0:1], s[0:1], v[147:148]
	v_fma_f64 v[147:148], v[0:1], s[0:1], -v[147:148]
	v_add_f64_e64 v[90:91], v[90:91], -v[143:144]
	v_add_f64_e64 v[68:69], v[84:85], -v[68:69]
	v_fma_f64 v[84:85], v[0:1], s[16:17], v[161:162]
	v_fma_f64 v[143:144], v[0:1], s[16:17], -v[161:162]
	v_fma_f64 v[153:154], v[0:1], s[2:3], v[104:105]
	v_fma_f64 v[0:1], v[0:1], s[2:3], -v[104:105]
	v_add_f64_e32 v[106:107], v[34:35], v[106:107]
	v_add_f64_e32 v[96:97], v[98:99], v[96:97]
	;; [unrolled: 1-line block ×11, first 2 shown]
	v_mul_f64_e32 v[76:77], s[36:37], v[86:87]
	v_mul_f64_e32 v[94:95], s[24:25], v[86:87]
	v_mul_f64_e32 v[127:128], s[30:31], v[86:87]
	v_mul_f64_e32 v[129:130], s[22:23], v[86:87]
	v_fma_f64 v[131:132], v[4:5], s[14:15], v[88:89]
	v_fma_f64 v[88:89], v[4:5], s[14:15], -v[88:89]
	v_fma_f64 v[133:134], v[4:5], s[0:1], v[92:93]
	v_fma_f64 v[92:93], v[4:5], s[0:1], -v[92:93]
	v_add_f64_e64 v[72:73], v[72:73], -v[137:138]
	v_add_f64_e32 v[106:107], v[38:39], v[106:107]
	v_add_f64_e32 v[84:85], v[84:85], v[96:97]
	;; [unrolled: 1-line block ×10, first 2 shown]
	v_add_f64_e64 v[70:71], v[70:71], -v[76:77]
	v_fma_f64 v[90:91], v[60:61], s[14:15], v[94:95]
	v_fma_f64 v[94:95], v[60:61], s[14:15], -v[94:95]
	v_fma_f64 v[123:124], v[60:61], s[12:13], -v[127:128]
	v_add_f64_e64 v[66:67], v[66:67], -v[129:130]
	v_add_f64_e32 v[106:107], v[30:31], v[106:107]
	v_add_f64_e32 v[84:85], v[131:132], v[84:85]
	;; [unrolled: 1-line block ×4, first 2 shown]
	s_delay_alu instid0(VALU_DEP_4)
	v_add_f64_e32 v[82:83], v[26:27], v[106:107]
	v_mul_f64_e32 v[106:107], s[34:35], v[100:101]
	v_mul_f64_e32 v[100:101], s[42:43], v[100:101]
	v_add_f64_e32 v[0:1], v[94:95], v[0:1]
	v_add_f64_e32 v[62:63], v[66:67], v[62:63]
	v_mad_u32_u24 v66, 0x68, v120, 0
	v_add_f64_e32 v[64:65], v[22:23], v[82:83]
	v_mul_f64_e32 v[82:83], s[34:35], v[86:87]
	v_mul_f64_e32 v[86:87], s[40:41], v[86:87]
	v_add_f64_e64 v[74:75], v[74:75], -v[106:107]
	v_fma_f64 v[106:107], v[4:5], s[16:17], v[135:136]
	v_fma_f64 v[135:136], v[4:5], s[16:17], -v[135:136]
	v_fma_f64 v[137:138], v[4:5], s[2:3], v[100:101]
	v_fma_f64 v[4:5], v[4:5], s[2:3], -v[100:101]
	v_add_f64_e32 v[100:101], v[139:140], v[121:122]
	v_fma_f64 v[121:122], v[60:61], s[12:13], v[127:128]
	v_add_f64_e32 v[64:65], v[14:15], v[64:65]
	v_fma_f64 v[68:69], v[60:61], s[6:7], v[82:83]
	v_fma_f64 v[82:83], v[60:61], s[6:7], -v[82:83]
	v_fma_f64 v[76:77], v[60:61], s[16:17], v[86:87]
	v_fma_f64 v[60:61], v[60:61], s[16:17], -v[86:87]
	v_add_f64_e32 v[86:87], v[88:89], v[96:97]
	v_add_f64_e32 v[88:89], v[133:134], v[98:99]
	v_add_f64_e32 v[4:5], v[4:5], v[102:103]
	v_add_f64_e32 v[92:93], v[137:138], v[100:101]
	v_add_f64_e32 v[96:97], v[106:107], v[104:105]
	v_add_f64_e32 v[58:59], v[135:136], v[58:59]
	v_add_f64_e32 v[18:19], v[74:75], v[18:19]
	v_add_f64_e32 v[64:65], v[10:11], v[64:65]
	v_add_f64_e32 v[68:69], v[68:69], v[84:85]
	v_add_f64_e32 v[72:73], v[82:83], v[86:87]
	v_add_f64_e32 v[74:75], v[90:91], v[88:89]
	v_add_f64_e32 v[4:5], v[60:61], v[4:5]
	v_add_f64_e32 v[76:77], v[76:77], v[92:93]
	v_add_f64_e32 v[60:61], v[121:122], v[96:97]
	v_add_f64_e32 v[58:59], v[123:124], v[58:59]
	v_add_f64_e32 v[18:19], v[70:71], v[18:19]
	v_add_f64_e32 v[64:65], v[6:7], v[64:65]
	ds_store_2addr_b64 v66, v[4:5], v[0:1] offset0:4 offset1:5
	ds_store_2addr_b64 v66, v[72:73], v[68:69] offset0:6 offset1:7
	;; [unrolled: 1-line block ×4, first 2 shown]
	ds_store_2addr_b64 v66, v[64:65], v[62:63] offset1:1
	ds_store_2addr_b64 v66, v[18:19], v[58:59] offset0:2 offset1:3
	ds_store_b64 v66, v[80:81] offset:96
.LBB0_13:
	s_or_b32 exec_lo, exec_lo, s38
	v_add_f64_e64 v[106:107], v[46:47], -v[6:7]
	v_add_f64_e64 v[104:105], v[50:51], -v[10:11]
	v_add_f64_e32 v[98:99], v[8:9], v[48:49]
	v_add_f64_e64 v[92:93], v[42:43], -v[14:15]
	v_add_f64_e32 v[90:91], v[12:13], v[52:53]
	v_add_f64_e32 v[82:83], v[16:17], v[44:45]
	v_add_f64_e64 v[88:89], v[54:55], -v[22:23]
	v_add_f64_e32 v[42:43], v[24:25], v[56:57]
	v_add_f64_e64 v[50:51], v[34:35], -v[26:27]
	v_add_f64_e64 v[30:31], v[38:39], -v[30:31]
	v_lshl_add_u32 v121, v120, 3, 0
	global_wb scope:SCOPE_SE
	s_wait_dscnt 0x0
	s_barrier_signal -1
	s_barrier_wait -1
	global_inv scope:SCOPE_SE
	v_add_nc_u32_e32 v123, 0x800, v121
	v_add_nc_u32_e32 v122, 0x1400, v121
	v_mul_f64_e32 v[100:101], s[18:19], v[106:107]
	v_mul_f64_e32 v[102:103], s[20:21], v[106:107]
	;; [unrolled: 1-line block ×10, first 2 shown]
	v_fma_f64 v[0:1], v[98:99], s[0:1], -v[100:101]
	v_fma_f64 v[4:5], v[98:99], s[16:17], -v[102:103]
	;; [unrolled: 1-line block ×7, first 2 shown]
	v_add_f64_e32 v[0:1], v[20:21], v[0:1]
	v_add_f64_e32 v[4:5], v[20:21], v[4:5]
	s_delay_alu instid0(VALU_DEP_2) | instskip(NEXT) | instid1(VALU_DEP_2)
	v_add_f64_e32 v[0:1], v[6:7], v[0:1]
	v_add_f64_e32 v[4:5], v[10:11], v[4:5]
	v_add_f64_e32 v[10:11], v[28:29], v[36:37]
	v_fma_f64 v[6:7], v[42:43], s[14:15], -v[34:35]
	s_delay_alu instid0(VALU_DEP_4) | instskip(NEXT) | instid1(VALU_DEP_4)
	v_add_f64_e32 v[0:1], v[14:15], v[0:1]
	v_add_f64_e32 v[54:55], v[18:19], v[4:5]
	;; [unrolled: 1-line block ×3, first 2 shown]
	v_mul_f64_e32 v[14:15], s[22:23], v[30:31]
	v_mul_f64_e32 v[18:19], s[36:37], v[30:31]
	v_fma_f64 v[58:59], v[10:11], s[12:13], -v[22:23]
	v_fma_f64 v[60:61], v[10:11], s[6:7], -v[26:27]
	v_add_f64_e32 v[0:1], v[6:7], v[0:1]
	v_add_f64_e32 v[6:7], v[38:39], v[54:55]
	v_fma_f64 v[38:39], v[4:5], s[2:3], -v[14:15]
	v_fma_f64 v[62:63], v[4:5], s[0:1], -v[18:19]
	s_delay_alu instid0(VALU_DEP_4) | instskip(NEXT) | instid1(VALU_DEP_4)
	v_add_f64_e32 v[0:1], v[58:59], v[0:1]
	v_add_f64_e32 v[6:7], v[60:61], v[6:7]
	s_delay_alu instid0(VALU_DEP_2) | instskip(NEXT) | instid1(VALU_DEP_2)
	v_add_f64_e32 v[54:55], v[38:39], v[0:1]
	v_add_f64_e32 v[6:7], v[62:63], v[6:7]
	v_add_nc_u32_e32 v38, 0x1e00, v121
	v_add_nc_u32_e32 v39, 0x2800, v121
	ds_load_2addr_b64 v[58:61], v121 offset1:169
	ds_load_2addr_b64 v[74:77], v123 offset0:82 offset1:251
	ds_load_2addr_b64 v[70:73], v122 offset0:36 offset1:205
	ds_load_2addr_b64 v[62:65], v38 offset0:54 offset1:223
	ds_load_2addr_b64 v[66:69], v39 offset0:72 offset1:241
	ds_load_b64 v[0:1], v121 offset:13520
	global_wb scope:SCOPE_SE
	s_wait_dscnt 0x0
	s_barrier_signal -1
	s_barrier_wait -1
	global_inv scope:SCOPE_SE
	s_and_saveexec_b32 s44, vcc_lo
	s_cbranch_execz .LBB0_15
; %bb.14:
	v_add_f64_e32 v[48:49], v[48:49], v[20:21]
	s_mov_b32 s18, 0x2ef20147
	s_mov_b32 s24, 0x24c2f84
	s_mov_b32 s19, 0xbfedeba7
	s_mov_b32 s25, 0xbfe5384d
	s_mov_b32 s31, 0xbfcea1e5
	s_mov_b32 s30, 0x4bc48dbf
	s_wait_alu 0xfffe
	v_mul_f64_e32 v[124:125], s[24:25], v[106:107]
	s_mov_b32 s38, 0x66966769
	v_mul_f64_e32 v[126:127], s[30:31], v[106:107]
	s_mov_b32 s39, 0xbfefc445
	s_mov_b32 s29, 0x3fe5384d
	;; [unrolled: 1-line block ×11, first 2 shown]
	s_wait_alu 0xfffe
	v_mul_f64_e32 v[134:135], s[28:29], v[104:105]
	s_mov_b32 s28, 0x93053d00
	s_mov_b32 s29, 0xbfef11f4
	v_mul_f64_e32 v[128:129], s[14:15], v[90:91]
	v_mul_f64_e32 v[130:131], s[30:31], v[104:105]
	v_mul_f64_e32 v[132:133], s[36:37], v[104:105]
	v_mul_f64_e32 v[104:105], s[26:27], v[104:105]
	s_mov_b32 s42, 0x42a4c3d2
	s_mov_b32 s34, 0xe00740e9
	;; [unrolled: 1-line block ×6, first 2 shown]
	v_mul_f64_e32 v[140:141], s[36:37], v[92:93]
	s_wait_alu 0xfffe
	v_mul_f64_e32 v[142:143], s[42:43], v[92:93]
	v_mul_f64_e32 v[144:145], s[24:25], v[92:93]
	;; [unrolled: 1-line block ×3, first 2 shown]
	v_add_f64_e32 v[48:49], v[52:53], v[48:49]
	v_mul_f64_e32 v[52:53], s[16:17], v[98:99]
	s_mov_b32 s31, 0x3fcea1e5
	s_mov_b32 s41, 0x3fea55e2
	;; [unrolled: 1-line block ×3, first 2 shown]
	v_mul_f64_e32 v[150:151], s[38:39], v[88:89]
	s_wait_alu 0xfffe
	v_mul_f64_e32 v[152:153], s[30:31], v[88:89]
	v_fma_f64 v[136:137], v[98:99], s[28:29], v[126:127]
	v_fma_f64 v[126:127], v[98:99], s[28:29], -v[126:127]
	v_fma_f64 v[146:147], v[90:91], s[22:23], v[134:135]
	v_fma_f64 v[134:135], v[90:91], s[22:23], -v[134:135]
	;; [unrolled: 2-line block ×3, first 2 shown]
	v_add_f64_e32 v[44:45], v[44:45], v[48:49]
	v_mul_f64_e32 v[48:49], s[0:1], v[98:99]
	v_add_f64_e32 v[52:53], v[52:53], v[102:103]
	v_fma_f64 v[102:103], v[98:99], s[22:23], v[124:125]
	v_fma_f64 v[124:125], v[98:99], s[22:23], -v[124:125]
	v_fma_f64 v[156:157], v[82:83], s[20:21], v[92:93]
	v_add_f64_e32 v[126:127], v[20:21], v[126:127]
	v_add_f64_e32 v[44:45], v[56:57], v[44:45]
	v_mul_f64_e32 v[56:57], s[18:19], v[106:107]
	v_mul_f64_e32 v[106:107], s[38:39], v[106:107]
	v_add_f64_e32 v[48:49], v[48:49], v[100:101]
	v_add_f64_e32 v[52:53], v[20:21], v[52:53]
	v_add_f64_e32 v[102:103], v[20:21], v[102:103]
	v_add_f64_e32 v[124:125], v[20:21], v[124:125]
	v_add_f64_e32 v[36:37], v[36:37], v[44:45]
	v_mul_f64_e32 v[44:45], s[16:17], v[90:91]
	s_mov_b32 s16, 0xebaa3ed8
	v_fma_f64 v[100:101], v[98:99], s[20:21], v[56:57]
	s_mov_b32 s17, 0x3fbedb7d
	v_fma_f64 v[56:57], v[98:99], s[20:21], -v[56:57]
	s_wait_alu 0xfffe
	v_fma_f64 v[138:139], v[98:99], s[16:17], -v[106:107]
	v_fma_f64 v[148:149], v[90:91], s[16:17], v[104:105]
	v_add_f64_e32 v[48:49], v[20:21], v[48:49]
	v_add_f64_e32 v[36:37], v[40:41], v[36:37]
	v_fma_f64 v[40:41], v[98:99], s[16:17], v[106:107]
	v_mul_f64_e32 v[98:99], s[6:7], v[82:83]
	v_mul_f64_e32 v[106:107], s[2:3], v[82:83]
	v_add_f64_e32 v[44:45], v[44:45], v[94:95]
	v_add_f64_e32 v[94:95], v[128:129], v[96:97]
	;; [unrolled: 1-line block ×3, first 2 shown]
	v_fma_f64 v[96:97], v[90:91], s[28:29], v[130:131]
	v_fma_f64 v[128:129], v[90:91], s[28:29], -v[130:131]
	v_fma_f64 v[130:131], v[90:91], s[34:35], v[132:133]
	v_fma_f64 v[132:133], v[90:91], s[34:35], -v[132:133]
	v_fma_f64 v[90:91], v[90:91], s[16:17], -v[104:105]
	v_add_f64_e32 v[104:105], v[20:21], v[136:137]
	v_add_f64_e32 v[56:57], v[20:21], v[56:57]
	;; [unrolled: 1-line block ×3, first 2 shown]
	v_mul_f64_e32 v[138:139], s[36:37], v[88:89]
	v_mul_f64_e32 v[88:89], s[40:41], v[88:89]
	v_add_f64_e32 v[32:33], v[32:33], v[36:37]
	v_add_f64_e32 v[20:21], v[20:21], v[40:41]
	v_mul_f64_e32 v[36:37], s[14:15], v[42:43]
	s_mov_b32 s14, 0x1ea71119
	s_mov_b32 s15, 0x3fe22d96
	v_add_f64_e32 v[84:85], v[98:99], v[84:85]
	v_add_f64_e32 v[86:87], v[106:107], v[86:87]
	v_fma_f64 v[98:99], v[82:83], s[34:35], v[140:141]
	v_fma_f64 v[106:107], v[82:83], s[34:35], -v[140:141]
	s_wait_alu 0xfffe
	v_fma_f64 v[140:141], v[82:83], s[14:15], v[142:143]
	v_fma_f64 v[142:143], v[82:83], s[14:15], -v[142:143]
	v_fma_f64 v[82:83], v[82:83], s[20:21], -v[92:93]
	v_add_f64_e32 v[44:45], v[44:45], v[48:49]
	v_add_f64_e32 v[48:49], v[94:95], v[52:53]
	;; [unrolled: 1-line block ×4, first 2 shown]
	v_mul_f64_e32 v[40:41], s[12:13], v[42:43]
	v_add_f64_e32 v[94:95], v[130:131], v[104:105]
	v_add_f64_e32 v[100:101], v[132:133], v[126:127]
	;; [unrolled: 1-line block ×5, first 2 shown]
	v_mul_f64_e32 v[104:105], s[42:43], v[50:51]
	v_mul_f64_e32 v[124:125], s[36:37], v[50:51]
	;; [unrolled: 1-line block ×4, first 2 shown]
	v_fma_f64 v[128:129], v[42:43], s[16:17], v[150:151]
	v_fma_f64 v[132:133], v[42:43], s[28:29], v[152:153]
	v_fma_f64 v[130:131], v[42:43], s[16:17], -v[150:151]
	v_fma_f64 v[134:135], v[42:43], s[28:29], -v[152:153]
	v_fma_f64 v[136:137], v[42:43], s[14:15], v[88:89]
	v_add_f64_e32 v[28:29], v[28:29], v[32:33]
	v_add_f64_e32 v[20:21], v[96:97], v[20:21]
	v_mul_f64_e32 v[32:33], s[12:13], v[10:11]
	v_mul_f64_e32 v[96:97], s[6:7], v[10:11]
	v_add_f64_e32 v[34:35], v[36:37], v[34:35]
	v_add_f64_e32 v[44:45], v[84:85], v[44:45]
	;; [unrolled: 1-line block ×6, first 2 shown]
	v_fma_f64 v[40:41], v[42:43], s[34:35], v[138:139]
	v_fma_f64 v[46:47], v[42:43], s[34:35], -v[138:139]
	v_fma_f64 v[42:43], v[42:43], s[14:15], -v[88:89]
	v_add_f64_e32 v[86:87], v[154:155], v[94:95]
	v_add_f64_e32 v[88:89], v[144:145], v[100:101]
	;; [unrolled: 1-line block ×5, first 2 shown]
	v_mul_f64_e32 v[94:95], s[24:25], v[30:31]
	v_mul_f64_e32 v[98:99], s[18:19], v[30:31]
	;; [unrolled: 1-line block ×4, first 2 shown]
	v_fma_f64 v[102:103], v[10:11], s[34:35], v[124:125]
	v_fma_f64 v[106:107], v[10:11], s[20:21], v[126:127]
	v_mul_f64_e32 v[92:93], s[0:1], v[4:5]
	v_add_f64_e32 v[24:25], v[24:25], v[28:29]
	v_add_f64_e32 v[20:21], v[156:157], v[20:21]
	v_mul_f64_e32 v[28:29], s[2:3], v[4:5]
	v_add_f64_e32 v[22:23], v[32:33], v[22:23]
	v_add_f64_e32 v[26:27], v[96:97], v[26:27]
	v_fma_f64 v[32:33], v[10:11], s[14:15], v[104:105]
	v_fma_f64 v[96:97], v[10:11], s[14:15], -v[104:105]
	v_fma_f64 v[104:105], v[10:11], s[34:35], -v[124:125]
	;; [unrolled: 1-line block ×3, first 2 shown]
	v_fma_f64 v[126:127], v[10:11], s[28:29], v[50:51]
	v_fma_f64 v[10:11], v[10:11], s[28:29], -v[50:51]
	v_add_f64_e32 v[34:35], v[34:35], v[44:45]
	v_add_f64_e32 v[44:45], v[128:129], v[52:53]
	v_add_f64_e32 v[50:51], v[132:133], v[84:85]
	v_add_f64_e32 v[36:37], v[36:37], v[48:49]
	v_add_f64_e32 v[52:53], v[136:137], v[86:87]
	v_add_f64_e32 v[42:43], v[42:43], v[88:89]
	v_add_f64_e32 v[48:49], v[130:131], v[56:57]
	v_add_f64_e32 v[56:57], v[134:135], v[90:91]
	v_add_f64_e32 v[46:47], v[46:47], v[82:83]
	v_fma_f64 v[82:83], v[4:5], s[20:21], -v[98:99]
	v_fma_f64 v[84:85], v[4:5], s[14:15], v[100:101]
	v_fma_f64 v[86:87], v[4:5], s[14:15], -v[100:101]
	v_fma_f64 v[88:89], v[4:5], s[16:17], v[30:31]
	v_add_f64_e32 v[18:19], v[92:93], v[18:19]
	v_add_f64_e32 v[16:17], v[16:17], v[24:25]
	;; [unrolled: 1-line block ×4, first 2 shown]
	v_fma_f64 v[24:25], v[4:5], s[22:23], v[94:95]
	v_fma_f64 v[28:29], v[4:5], s[22:23], -v[94:95]
	v_fma_f64 v[40:41], v[4:5], s[20:21], v[98:99]
	v_fma_f64 v[4:5], v[4:5], s[16:17], -v[30:31]
	v_add_f64_e32 v[22:23], v[22:23], v[34:35]
	v_add_f64_e32 v[30:31], v[126:127], v[44:45]
	;; [unrolled: 1-line block ×22, first 2 shown]
	v_mad_u32_u24 v16, 0x60, v120, v121
	ds_store_2addr_b64 v16, v[20:21], v[22:23] offset0:4 offset1:5
	ds_store_2addr_b64 v16, v[26:27], v[4:5] offset0:6 offset1:7
	;; [unrolled: 1-line block ×4, first 2 shown]
	ds_store_2addr_b64 v16, v[8:9], v[14:15] offset1:1
	ds_store_2addr_b64 v16, v[18:19], v[12:13] offset0:2 offset1:3
	ds_store_b64 v16, v[54:55] offset:96
.LBB0_15:
	s_or_b32 exec_lo, exec_lo, s44
	v_and_b32_e32 v4, 0xff, v120
	global_wb scope:SCOPE_SE
	s_wait_dscnt 0x0
	s_barrier_signal -1
	s_barrier_wait -1
	global_inv scope:SCOPE_SE
	v_mul_lo_u16 v4, 0x4f, v4
	s_mov_b32 s0, 0xf8bb580b
	s_mov_b32 s34, 0x8eee2c13
	;; [unrolled: 1-line block ×4, first 2 shown]
	v_lshrrev_b16 v82, 10, v4
	s_mov_b32 s20, 0xfd768dbf
	s_mov_b32 s1, 0xbfe14ced
	;; [unrolled: 1-line block ×4, first 2 shown]
	v_mul_lo_u16 v4, v82, 13
	s_mov_b32 s19, 0xbfe82f19
	s_mov_b32 s21, 0xbfd207e7
	;; [unrolled: 1-line block ×4, first 2 shown]
	v_sub_nc_u16 v4, v120, v4
	s_mov_b32 s2, 0x640f44db
	s_mov_b32 s14, 0x7f775887
	s_mov_b32 s22, 0x9bcd5057
	s_mov_b32 s13, 0x3feaeb8c
	v_and_b32_e32 v83, 0xff, v4
	s_mov_b32 s7, 0x3fda9628
	s_mov_b32 s3, 0xbfc2375f
	;; [unrolled: 1-line block ×4, first 2 shown]
	v_mul_u32_u24_e32 v4, 10, v83
	s_mov_b32 s29, 0x3fefac9e
	s_mov_b32 s25, 0x3fe14ced
	s_wait_alu 0xfffe
	s_mov_b32 s30, s20
	s_mov_b32 s28, s16
	v_lshlrev_b32_e32 v4, 4, v4
	s_mov_b32 s24, s0
	s_mov_b32 s23, 0xbfeeb42a
	;; [unrolled: 1-line block ×4, first 2 shown]
	s_clause 0x9
	global_load_b128 v[8:11], v4, s[4:5]
	global_load_b128 v[16:19], v4, s[4:5] offset:16
	global_load_b128 v[20:23], v4, s[4:5] offset:144
	;; [unrolled: 1-line block ×9, first 2 shown]
	ds_load_2addr_b64 v[12:15], v121 offset1:169
	ds_load_2addr_b64 v[100:103], v123 offset0:82 offset1:251
	ds_load_b64 v[36:37], v121 offset:13520
	ds_load_2addr_b64 v[104:107], v122 offset0:36 offset1:205
	s_wait_loadcnt_dscnt 0x903
	v_mul_f64_e32 v[4:5], v[14:15], v[10:11]
	s_wait_loadcnt_dscnt 0x802
	v_mul_f64_e32 v[32:33], v[100:101], v[18:19]
	v_mul_f64_e32 v[18:19], v[74:75], v[18:19]
	s_wait_loadcnt 0x6
	v_mul_f64_e32 v[34:35], v[102:103], v[26:27]
	s_wait_loadcnt 0x5
	v_mul_f64_e32 v[52:53], v[68:69], v[30:31]
	v_mul_f64_e32 v[26:27], v[76:77], v[26:27]
	v_fma_f64 v[46:47], v[60:61], v[8:9], -v[4:5]
	v_mul_f64_e32 v[4:5], v[60:61], v[10:11]
	v_mul_f64_e32 v[10:11], v[0:1], v[22:23]
	v_fma_f64 v[44:45], v[74:75], v[16:17], -v[32:33]
	s_wait_dscnt 0x1
	v_mul_f64_e32 v[22:23], v[36:37], v[22:23]
	v_fma_f64 v[34:35], v[76:77], v[24:25], -v[34:35]
	s_wait_loadcnt 0x3
	v_mul_f64_e32 v[74:75], v[66:67], v[86:87]
	s_wait_loadcnt 0x1
	v_mul_f64_e32 v[76:77], v[64:65], v[94:95]
	v_add_f64_e32 v[32:33], v[58:59], v[46:47]
	v_fma_f64 v[50:51], v[14:15], v[8:9], v[4:5]
	v_fma_f64 v[48:49], v[36:37], v[20:21], v[10:11]
	s_wait_dscnt 0x0
	v_mul_f64_e32 v[14:15], v[104:105], v[42:43]
	ds_load_2addr_b64 v[8:11], v39 offset0:72 offset1:241
	v_fma_f64 v[36:37], v[100:101], v[16:17], v[18:19]
	v_fma_f64 v[60:61], v[0:1], v[20:21], -v[22:23]
	ds_load_2addr_b64 v[16:19], v38 offset0:54 offset1:223
	v_mul_f64_e32 v[22:23], v[70:71], v[42:43]
	v_fma_f64 v[38:39], v[102:103], v[24:25], v[26:27]
	global_wb scope:SCOPE_SE
	s_wait_loadcnt_dscnt 0x0
	s_barrier_signal -1
	s_barrier_wait -1
	global_inv scope:SCOPE_SE
	v_mul_f64_e32 v[30:31], v[10:11], v[30:31]
	v_fma_f64 v[4:5], v[10:11], v[28:29], v[52:53]
	v_mul_f64_e32 v[10:11], v[106:107], v[90:91]
	v_mul_f64_e32 v[24:25], v[16:17], v[98:99]
	v_add_f64_e32 v[56:57], v[32:33], v[44:45]
	v_add_f64_e64 v[0:1], v[50:51], -v[48:49]
	v_fma_f64 v[32:33], v[70:71], v[40:41], -v[14:15]
	v_mul_f64_e32 v[70:71], v[8:9], v[86:87]
	v_fma_f64 v[14:15], v[8:9], v[84:85], v[74:75]
	v_add_f64_e32 v[26:27], v[46:47], v[60:61]
	v_fma_f64 v[52:53], v[68:69], v[28:29], -v[30:31]
	v_add_f64_e64 v[8:9], v[36:37], -v[4:5]
	v_fma_f64 v[42:43], v[72:73], v[88:89], -v[10:11]
	v_fma_f64 v[68:69], v[62:63], v[96:97], -v[24:25]
	v_add_f64_e32 v[20:21], v[56:57], v[34:35]
	v_fma_f64 v[56:57], v[104:105], v[40:41], v[22:23]
	v_mul_f64_e32 v[28:29], s[0:1], v[0:1]
	v_mul_f64_e32 v[30:31], s[34:35], v[0:1]
	;; [unrolled: 1-line block ×5, first 2 shown]
	v_fma_f64 v[70:71], v[66:67], v[84:85], -v[70:71]
	v_fma_f64 v[40:41], v[18:19], v[92:93], v[76:77]
	v_add_f64_e32 v[22:23], v[44:45], v[52:53]
	v_mul_f64_e32 v[76:77], s[34:35], v[8:9]
	v_mul_f64_e32 v[84:85], s[18:19], v[8:9]
	v_add_f64_e32 v[10:11], v[20:21], v[32:33]
	v_mul_f64_e32 v[20:21], v[72:73], v[90:91]
	v_mul_f64_e32 v[72:73], v[62:63], v[98:99]
	;; [unrolled: 1-line block ×3, first 2 shown]
	v_add_f64_e64 v[18:19], v[38:39], -v[14:15]
	s_wait_alu 0xfffe
	v_mul_f64_e32 v[94:95], s[30:31], v[8:9]
	v_mul_f64_e32 v[98:99], s[28:29], v[8:9]
	;; [unrolled: 1-line block ×3, first 2 shown]
	v_fma_f64 v[24:25], v[26:27], s[12:13], -v[28:29]
	v_fma_f64 v[100:101], v[26:27], s[6:7], -v[30:31]
	v_fma_f64 v[30:31], v[26:27], s[6:7], v[30:31]
	v_fma_f64 v[102:103], v[26:27], s[2:3], -v[74:75]
	v_fma_f64 v[104:105], v[26:27], s[14:15], -v[86:87]
	v_fma_f64 v[86:87], v[26:27], s[14:15], v[86:87]
	v_fma_f64 v[122:123], v[26:27], s[22:23], -v[0:1]
	v_fma_f64 v[0:1], v[26:27], s[22:23], v[0:1]
	v_fma_f64 v[74:75], v[26:27], s[2:3], v[74:75]
	;; [unrolled: 1-line block ×3, first 2 shown]
	v_add_f64_e32 v[10:11], v[10:11], v[42:43]
	v_fma_f64 v[62:63], v[106:107], v[88:89], v[20:21]
	v_fma_f64 v[66:67], v[16:17], v[96:97], v[72:73]
	v_fma_f64 v[64:65], v[64:65], v[92:93], -v[90:91]
	v_add_f64_e32 v[16:17], v[34:35], v[70:71]
	v_add_f64_e64 v[20:21], v[56:57], -v[40:41]
	v_mul_f64_e32 v[28:29], s[16:17], v[18:19]
	v_mul_f64_e32 v[72:73], s[30:31], v[18:19]
	;; [unrolled: 1-line block ×5, first 2 shown]
	v_fma_f64 v[92:93], v[22:23], s[6:7], -v[76:77]
	v_fma_f64 v[76:77], v[22:23], s[6:7], v[76:77]
	v_fma_f64 v[96:97], v[22:23], s[14:15], -v[84:85]
	v_fma_f64 v[84:85], v[22:23], s[14:15], v[84:85]
	v_fma_f64 v[106:107], v[22:23], s[22:23], -v[94:95]
	v_fma_f64 v[94:95], v[22:23], s[22:23], v[94:95]
	v_fma_f64 v[124:125], v[22:23], s[2:3], -v[98:99]
	v_fma_f64 v[98:99], v[22:23], s[2:3], v[98:99]
	v_fma_f64 v[126:127], v[22:23], s[12:13], -v[8:9]
	v_fma_f64 v[8:9], v[22:23], s[12:13], v[8:9]
	v_add_f64_e32 v[22:23], v[58:59], v[24:25]
	v_add_f64_e32 v[24:25], v[58:59], v[100:101]
	;; [unrolled: 1-line block ×11, first 2 shown]
	v_add_f64_e64 v[122:123], v[62:63], -v[66:67]
	v_add_f64_e32 v[58:59], v[32:33], v[64:65]
	v_mul_f64_e32 v[128:129], s[18:19], v[20:21]
	v_mul_f64_e32 v[130:131], s[28:29], v[20:21]
	;; [unrolled: 1-line block ×5, first 2 shown]
	v_fma_f64 v[136:137], v[16:17], s[2:3], -v[28:29]
	v_fma_f64 v[28:29], v[16:17], s[2:3], v[28:29]
	v_fma_f64 v[138:139], v[16:17], s[22:23], -v[72:73]
	v_fma_f64 v[72:73], v[16:17], s[22:23], v[72:73]
	;; [unrolled: 2-line block ×5, first 2 shown]
	v_add_f64_e32 v[18:19], v[92:93], v[22:23]
	v_add_f64_e32 v[22:23], v[96:97], v[24:25]
	;; [unrolled: 1-line block ×12, first 2 shown]
	v_mul_f64_e32 v[76:77], s[20:21], v[122:123]
	v_mul_f64_e32 v[94:95], s[24:25], v[122:123]
	;; [unrolled: 1-line block ×5, first 2 shown]
	v_fma_f64 v[102:103], v[58:59], s[14:15], -v[128:129]
	v_fma_f64 v[104:105], v[58:59], s[14:15], v[128:129]
	v_fma_f64 v[106:107], v[58:59], s[2:3], -v[130:131]
	v_fma_f64 v[122:123], v[58:59], s[2:3], v[130:131]
	v_fma_f64 v[124:125], v[58:59], s[12:13], -v[132:133]
	v_fma_f64 v[126:127], v[58:59], s[12:13], v[132:133]
	v_fma_f64 v[128:129], v[58:59], s[22:23], -v[134:135]
	v_fma_f64 v[130:131], v[58:59], s[22:23], v[134:135]
	v_fma_f64 v[132:133], v[58:59], s[6:7], -v[20:21]
	v_fma_f64 v[20:21], v[58:59], s[6:7], v[20:21]
	v_add_f64_e32 v[18:19], v[136:137], v[18:19]
	v_add_f64_e32 v[22:23], v[138:139], v[22:23]
	;; [unrolled: 1-line block ×11, first 2 shown]
	v_fma_f64 v[26:27], v[74:75], s[22:23], -v[76:77]
	v_fma_f64 v[76:77], v[74:75], s[22:23], v[76:77]
	v_fma_f64 v[28:29], v[74:75], s[12:13], -v[94:95]
	v_fma_f64 v[86:87], v[74:75], s[12:13], v[94:95]
	;; [unrolled: 2-line block ×5, first 2 shown]
	v_add_f64_e32 v[18:19], v[102:103], v[18:19]
	v_add_f64_e32 v[22:23], v[106:107], v[22:23]
	;; [unrolled: 1-line block ×21, first 2 shown]
	v_and_b32_e32 v58, 0xffff, v82
	v_lshlrev_b32_e32 v59, 3, v83
	s_delay_alu instid0(VALU_DEP_2) | instskip(SKIP_1) | instid1(VALU_DEP_2)
	v_mul_u32_u24_e32 v58, 0x478, v58
	v_add_f64_e32 v[8:9], v[100:101], v[60:61]
	v_add3_u32 v58, 0, v58, v59
	ds_store_2addr_b64 v58, v[16:17], v[18:19] offset0:26 offset1:39
	ds_store_2addr_b64 v58, v[24:25], v[26:27] offset0:52 offset1:65
	;; [unrolled: 1-line block ×4, first 2 shown]
	ds_store_b64 v58, v[0:1] offset:1040
	ds_store_2addr_b64 v58, v[8:9], v[10:11] offset1:13
	global_wb scope:SCOPE_SE
	s_wait_dscnt 0x0
	s_barrier_signal -1
	s_barrier_wait -1
	global_inv scope:SCOPE_SE
	s_and_saveexec_b32 s36, vcc_lo
	s_cbranch_execz .LBB0_17
; %bb.16:
	v_add_nc_u32_e32 v0, 0x800, v121
	v_add_nc_u32_e32 v1, 0x1000, v121
	;; [unrolled: 1-line block ×5, first 2 shown]
	ds_load_2addr_b64 v[8:11], v121 offset1:143
	ds_load_2addr_b64 v[16:19], v0 offset0:30 offset1:173
	ds_load_2addr_b64 v[24:27], v1 offset0:60 offset1:203
	;; [unrolled: 1-line block ×5, first 2 shown]
	ds_load_b64 v[80:81], v121 offset:13728
.LBB0_17:
	s_wait_alu 0xfffe
	s_or_b32 exec_lo, exec_lo, s36
	v_add_f64_e32 v[72:73], v[12:13], v[50:51]
	v_add_f64_e64 v[46:47], v[46:47], -v[60:61]
	v_add_f64_e64 v[44:45], v[44:45], -v[52:53]
	v_add_f64_e32 v[50:51], v[50:51], v[48:49]
	v_add_f64_e64 v[34:35], v[34:35], -v[70:71]
	v_add_f64_e64 v[32:33], v[32:33], -v[64:65]
	;; [unrolled: 1-line block ×3, first 2 shown]
	global_wb scope:SCOPE_SE
	s_wait_dscnt 0x0
	s_barrier_signal -1
	s_barrier_wait -1
	global_inv scope:SCOPE_SE
	v_add_f64_e32 v[72:73], v[72:73], v[36:37]
	v_mul_f64_e32 v[52:53], s[0:1], v[46:47]
	v_mul_f64_e32 v[74:75], s[16:17], v[46:47]
	;; [unrolled: 1-line block ×3, first 2 shown]
	v_add_f64_e32 v[36:37], v[36:37], v[4:5]
	v_mul_f64_e32 v[70:71], s[34:35], v[44:45]
	v_mul_f64_e32 v[82:83], s[18:19], v[44:45]
	;; [unrolled: 1-line block ×10, first 2 shown]
	v_add_f64_e32 v[59:60], v[72:73], v[38:39]
	v_mul_f64_e32 v[72:73], s[34:35], v[46:47]
	v_mul_f64_e32 v[46:47], s[20:21], v[46:47]
	v_fma_f64 v[88:89], v[50:51], s[12:13], v[52:53]
	v_fma_f64 v[92:93], v[50:51], s[2:3], v[74:75]
	;; [unrolled: 1-line block ×3, first 2 shown]
	v_fma_f64 v[76:77], v[50:51], s[14:15], -v[76:77]
	v_fma_f64 v[74:75], v[50:51], s[2:3], -v[74:75]
	v_add_f64_e32 v[38:39], v[38:39], v[14:15]
	v_fma_f64 v[102:103], v[36:37], s[6:7], v[70:71]
	v_fma_f64 v[70:71], v[36:37], s[6:7], -v[70:71]
	v_fma_f64 v[104:105], v[36:37], s[14:15], v[82:83]
	v_fma_f64 v[82:83], v[36:37], s[14:15], -v[82:83]
	;; [unrolled: 2-line block ×5, first 2 shown]
	v_add_f64_e32 v[59:60], v[59:60], v[56:57]
	v_fma_f64 v[90:91], v[50:51], s[6:7], v[72:73]
	v_fma_f64 v[72:73], v[50:51], s[6:7], -v[72:73]
	v_fma_f64 v[96:97], v[50:51], s[22:23], v[46:47]
	v_fma_f64 v[46:47], v[50:51], s[22:23], -v[46:47]
	v_fma_f64 v[50:51], v[50:51], s[12:13], -v[52:53]
	v_add_f64_e32 v[44:45], v[12:13], v[88:89]
	v_add_f64_e32 v[76:77], v[12:13], v[76:77]
	;; [unrolled: 1-line block ×3, first 2 shown]
	v_fma_f64 v[130:131], v[38:39], s[22:23], v[64:65]
	v_fma_f64 v[64:65], v[38:39], s[22:23], -v[64:65]
	v_fma_f64 v[132:133], v[38:39], s[6:7], v[98:99]
	v_fma_f64 v[98:99], v[38:39], s[6:7], -v[98:99]
	v_fma_f64 v[134:135], v[38:39], s[12:13], v[100:101]
	v_fma_f64 v[100:101], v[38:39], s[12:13], -v[100:101]
	v_add_f64_e32 v[52:53], v[59:60], v[62:63]
	v_mul_f64_e32 v[59:60], s[16:17], v[34:35]
	v_mul_f64_e32 v[34:35], s[18:19], v[34:35]
	v_add_f64_e32 v[88:89], v[12:13], v[90:91]
	v_add_f64_e32 v[72:73], v[12:13], v[72:73]
	;; [unrolled: 1-line block ×7, first 2 shown]
	v_mul_f64_e32 v[96:97], s[0:1], v[32:33]
	v_add_f64_e32 v[76:77], v[86:87], v[76:77]
	v_add_f64_e32 v[50:51], v[52:53], v[66:67]
	v_add_f64_e32 v[52:53], v[56:57], v[40:41]
	v_mul_f64_e32 v[56:57], s[18:19], v[32:33]
	v_mul_f64_e32 v[32:33], s[26:27], v[32:33]
	v_fma_f64 v[128:129], v[38:39], s[2:3], v[59:60]
	v_fma_f64 v[59:60], v[38:39], s[2:3], -v[59:60]
	v_fma_f64 v[136:137], v[38:39], s[14:15], v[34:35]
	v_fma_f64 v[34:35], v[38:39], s[14:15], -v[34:35]
	v_add_f64_e32 v[38:39], v[102:103], v[44:45]
	v_add_f64_e32 v[44:45], v[104:105], v[88:89]
	;; [unrolled: 1-line block ×9, first 2 shown]
	v_mul_f64_e32 v[70:71], s[18:19], v[42:43]
	v_mul_f64_e32 v[74:75], s[26:27], v[42:43]
	v_add_f64_e32 v[76:77], v[100:101], v[76:77]
	v_add_f64_e32 v[40:41], v[50:51], v[40:41]
	;; [unrolled: 1-line block ×3, first 2 shown]
	v_mul_f64_e32 v[61:62], s[20:21], v[42:43]
	v_mul_f64_e32 v[66:67], s[24:25], v[42:43]
	;; [unrolled: 1-line block ×3, first 2 shown]
	v_fma_f64 v[84:85], v[52:53], s[14:15], v[56:57]
	v_fma_f64 v[56:57], v[52:53], s[14:15], -v[56:57]
	v_fma_f64 v[90:91], v[52:53], s[2:3], v[68:69]
	v_fma_f64 v[68:69], v[52:53], s[2:3], -v[68:69]
	;; [unrolled: 2-line block ×5, first 2 shown]
	v_add_f64_e32 v[38:39], v[128:129], v[38:39]
	v_add_f64_e32 v[44:45], v[130:131], v[44:45]
	;; [unrolled: 1-line block ×10, first 2 shown]
	v_fma_f64 v[86:87], v[50:51], s[6:7], v[74:75]
	v_fma_f64 v[40:41], v[50:51], s[22:23], v[61:62]
	v_fma_f64 v[59:60], v[50:51], s[22:23], -v[61:62]
	v_fma_f64 v[46:47], v[50:51], s[12:13], v[66:67]
	v_fma_f64 v[61:62], v[50:51], s[12:13], -v[66:67]
	v_fma_f64 v[65:66], v[50:51], s[14:15], v[70:71]
	v_fma_f64 v[70:71], v[50:51], s[14:15], -v[70:71]
	v_fma_f64 v[74:75], v[50:51], s[6:7], -v[74:75]
	v_fma_f64 v[88:89], v[50:51], s[2:3], v[42:43]
	v_fma_f64 v[50:51], v[50:51], s[2:3], -v[42:43]
	v_add_f64_e32 v[38:39], v[84:85], v[38:39]
	v_add_f64_e32 v[42:43], v[90:91], v[44:45]
	;; [unrolled: 1-line block ×22, first 2 shown]
	ds_store_2addr_b64 v58, v[32:33], v[34:35] offset0:26 offset1:39
	ds_store_2addr_b64 v58, v[40:41], v[42:43] offset0:52 offset1:65
	;; [unrolled: 1-line block ×4, first 2 shown]
	ds_store_b64 v58, v[4:5] offset:1040
	ds_store_2addr_b64 v58, v[12:13], v[14:15] offset1:13
	global_wb scope:SCOPE_SE
	s_wait_dscnt 0x0
	s_barrier_signal -1
	s_barrier_wait -1
	global_inv scope:SCOPE_SE
	s_and_saveexec_b32 s0, vcc_lo
	s_cbranch_execnz .LBB0_20
; %bb.18:
	s_wait_alu 0xfffe
	s_or_b32 exec_lo, exec_lo, s0
	s_and_saveexec_b32 s0, s33
	s_cbranch_execnz .LBB0_21
.LBB0_19:
	s_endpgm
.LBB0_20:
	v_add_nc_u32_e32 v4, 0x800, v121
	v_add_nc_u32_e32 v5, 0x1000, v121
	;; [unrolled: 1-line block ×5, first 2 shown]
	ds_load_2addr_b64 v[12:15], v121 offset1:143
	ds_load_2addr_b64 v[32:35], v4 offset0:30 offset1:173
	ds_load_2addr_b64 v[40:43], v5 offset0:60 offset1:203
	ds_load_2addr_b64 v[44:47], v6 offset0:90 offset1:233
	ds_load_2addr_b64 v[36:39], v7 offset0:56 offset1:199
	ds_load_2addr_b64 v[4:7], v48 offset0:22 offset1:165
	ds_load_b64 v[54:55], v121 offset:13728
	s_wait_alu 0xfffe
	s_or_b32 exec_lo, exec_lo, s0
	s_and_saveexec_b32 s0, s33
	s_cbranch_execz .LBB0_19
.LBB0_21:
	v_mul_u32_u24_e32 v48, 12, v120
	s_mov_b32 s2, 0xe00740e9
	s_mov_b32 s3, 0x3fec55a7
	s_mov_b32 s0, 0x1ea71119
	s_mov_b32 s1, 0x3fe22d96
	v_lshlrev_b32_e32 v56, 4, v48
	s_mov_b32 s30, 0x42a4c3d2
	s_mov_b32 s31, 0xbfea55e2
	;; [unrolled: 1-line block ×4, first 2 shown]
	s_clause 0x1
	global_load_b128 v[48:51], v56, s[4:5] offset:2160
	global_load_b128 v[57:60], v56, s[4:5] offset:2144
	s_mov_b32 s16, 0x66966769
	s_mov_b32 s17, 0xbfefc445
	s_mov_b32 s12, 0x2ef20147
	s_mov_b32 s13, 0x3fedeba7
	s_mov_b32 s27, 0xbfedeba7
	s_wait_alu 0xfffe
	s_mov_b32 s26, s12
	s_mov_b32 s14, 0xd0032e0c
	s_mov_b32 s15, 0xbfe7f3cc
	s_mov_b32 s18, 0x24c2f84
	s_mov_b32 s19, 0x3fe5384d
	s_mov_b32 s25, 0xbfe5384d
	s_wait_alu 0xfffe
	s_mov_b32 s24, s18
	;; [unrolled: 7-line block ×3, first 2 shown]
	s_mov_b32 s29, 0x3fefc445
	s_mov_b32 s28, s16
	;; [unrolled: 1-line block ×5, first 2 shown]
	s_wait_loadcnt_dscnt 0x103
	v_mul_f64_e32 v[52:53], v[44:45], v[48:49]
	v_mul_f64_e32 v[44:45], v[44:45], v[50:51]
	s_delay_alu instid0(VALU_DEP_2) | instskip(NEXT) | instid1(VALU_DEP_2)
	v_fma_f64 v[52:53], v[28:29], v[50:51], v[52:53]
	v_fma_f64 v[28:29], v[28:29], v[48:49], -v[44:45]
	s_clause 0x1
	global_load_b128 v[48:51], v56, s[4:5] offset:2176
	global_load_b128 v[61:64], v56, s[4:5] offset:2192
	s_wait_loadcnt 0x1
	v_mul_f64_e32 v[44:45], v[46:47], v[48:49]
	v_mul_f64_e32 v[65:66], v[46:47], v[50:51]
	s_delay_alu instid0(VALU_DEP_2) | instskip(NEXT) | instid1(VALU_DEP_2)
	v_fma_f64 v[46:47], v[30:31], v[50:51], v[44:45]
	v_fma_f64 v[44:45], v[30:31], v[48:49], -v[65:66]
	v_mul_f64_e32 v[30:31], v[42:43], v[57:58]
	v_mul_f64_e32 v[42:43], v[42:43], v[59:60]
	s_delay_alu instid0(VALU_DEP_2) | instskip(NEXT) | instid1(VALU_DEP_2)
	v_fma_f64 v[30:31], v[26:27], v[59:60], v[30:31]
	v_fma_f64 v[26:27], v[26:27], v[57:58], -v[42:43]
	s_clause 0x1
	global_load_b128 v[48:51], v56, s[4:5] offset:2128
	global_load_b128 v[57:60], v56, s[4:5] offset:2112
	s_wait_loadcnt 0x1
	v_mul_f64_e32 v[42:43], v[40:41], v[48:49]
	v_mul_f64_e32 v[65:66], v[40:41], v[50:51]
	s_delay_alu instid0(VALU_DEP_2) | instskip(SKIP_3) | instid1(VALU_DEP_4)
	v_fma_f64 v[40:41], v[24:25], v[50:51], v[42:43]
	s_wait_dscnt 0x2
	v_mul_f64_e32 v[42:43], v[36:37], v[61:62]
	v_mul_f64_e32 v[36:37], v[36:37], v[63:64]
	v_fma_f64 v[24:25], v[24:25], v[48:49], -v[65:66]
	s_delay_alu instid0(VALU_DEP_3) | instskip(NEXT) | instid1(VALU_DEP_3)
	v_fma_f64 v[42:43], v[20:21], v[63:64], v[42:43]
	v_fma_f64 v[20:21], v[20:21], v[61:62], -v[36:37]
	s_clause 0x1
	global_load_b128 v[48:51], v56, s[4:5] offset:2208
	global_load_b128 v[61:64], v56, s[4:5] offset:2224
	s_wait_loadcnt 0x1
	v_mul_f64_e32 v[36:37], v[38:39], v[48:49]
	v_mul_f64_e32 v[38:39], v[38:39], v[50:51]
	s_delay_alu instid0(VALU_DEP_2) | instskip(SKIP_2) | instid1(VALU_DEP_4)
	v_fma_f64 v[65:66], v[22:23], v[50:51], v[36:37]
	v_mul_f64_e32 v[36:37], v[34:35], v[57:58]
	v_mul_f64_e32 v[34:35], v[34:35], v[59:60]
	v_fma_f64 v[22:23], v[22:23], v[48:49], -v[38:39]
	s_delay_alu instid0(VALU_DEP_3) | instskip(NEXT) | instid1(VALU_DEP_3)
	v_fma_f64 v[38:39], v[18:19], v[59:60], v[36:37]
	v_fma_f64 v[57:58], v[18:19], v[57:58], -v[34:35]
	s_clause 0x1
	global_load_b128 v[34:37], v56, s[4:5] offset:2096
	global_load_b128 v[48:51], v56, s[4:5] offset:2080
	s_wait_loadcnt 0x1
	v_mul_f64_e32 v[18:19], v[32:33], v[34:35]
	v_mul_f64_e32 v[32:33], v[32:33], v[36:37]
	s_delay_alu instid0(VALU_DEP_2) | instskip(NEXT) | instid1(VALU_DEP_2)
	v_fma_f64 v[36:37], v[16:17], v[36:37], v[18:19]
	v_fma_f64 v[59:60], v[16:17], v[34:35], -v[32:33]
	s_wait_dscnt 0x1
	v_mul_f64_e32 v[16:17], v[4:5], v[61:62]
	v_mul_f64_e32 v[4:5], v[4:5], v[63:64]
	s_delay_alu instid0(VALU_DEP_2)
	v_fma_f64 v[67:68], v[0:1], v[63:64], v[16:17]
	s_clause 0x1
	global_load_b128 v[16:19], v56, s[4:5] offset:2240
	global_load_b128 v[32:35], v56, s[4:5] offset:2256
	v_fma_f64 v[61:62], v[0:1], v[61:62], -v[4:5]
	s_mov_b32 s4, 0x4267c47c
	s_mov_b32 s5, 0xbfddbe06
	;; [unrolled: 1-line block ×3, first 2 shown]
	s_wait_loadcnt 0x1
	v_mul_f64_e32 v[0:1], v[6:7], v[16:17]
	v_mul_f64_e32 v[4:5], v[6:7], v[18:19]
	s_delay_alu instid0(VALU_DEP_2) | instskip(SKIP_2) | instid1(VALU_DEP_3)
	v_fma_f64 v[6:7], v[2:3], v[18:19], v[0:1]
	s_wait_loadcnt_dscnt 0x0
	v_mul_f64_e32 v[0:1], v[54:55], v[32:33]
	v_fma_f64 v[16:17], v[2:3], v[16:17], -v[4:5]
	v_mul_f64_e32 v[2:3], v[54:55], v[34:35]
	v_add_f64_e32 v[54:55], v[57:58], v[61:62]
	s_delay_alu instid0(VALU_DEP_4) | instskip(SKIP_1) | instid1(VALU_DEP_4)
	v_fma_f64 v[18:19], v[80:81], v[34:35], v[0:1]
	v_mul_f64_e32 v[0:1], v[14:15], v[48:49]
	v_fma_f64 v[32:33], v[80:81], v[32:33], -v[2:3]
	s_delay_alu instid0(VALU_DEP_2) | instskip(SKIP_3) | instid1(VALU_DEP_3)
	v_fma_f64 v[34:35], v[10:11], v[50:51], v[0:1]
	v_mul_f64_e32 v[0:1], v[14:15], v[50:51]
	v_mad_co_u64_u32 v[14:15], null, s8, v120, 0
	v_add_f64_e64 v[50:51], v[28:29], -v[44:45]
	v_fma_f64 v[10:11], v[10:11], v[48:49], -v[0:1]
	v_add_f64_e32 v[0:1], v[12:13], v[34:35]
	v_add_f64_e32 v[48:49], v[52:53], v[46:47]
	s_delay_alu instid0(VALU_DEP_3) | instskip(NEXT) | instid1(VALU_DEP_3)
	v_add_f64_e32 v[2:3], v[8:9], v[10:11]
	v_add_f64_e32 v[0:1], v[36:37], v[0:1]
	s_delay_alu instid0(VALU_DEP_3)
	v_mul_f64_e32 v[80:81], s[20:21], v[48:49]
	v_mul_f64_e32 v[104:105], s[2:3], v[48:49]
	;; [unrolled: 1-line block ×4, first 2 shown]
	v_add_f64_e32 v[2:3], v[59:60], v[2:3]
	v_add_f64_e32 v[0:1], v[38:39], v[0:1]
	s_delay_alu instid0(VALU_DEP_2) | instskip(NEXT) | instid1(VALU_DEP_2)
	v_add_f64_e32 v[2:3], v[57:58], v[2:3]
	v_add_f64_e32 v[0:1], v[40:41], v[0:1]
	s_delay_alu instid0(VALU_DEP_2) | instskip(NEXT) | instid1(VALU_DEP_2)
	v_add_f64_e32 v[2:3], v[24:25], v[2:3]
	v_add_f64_e32 v[0:1], v[30:31], v[0:1]
	s_delay_alu instid0(VALU_DEP_2) | instskip(NEXT) | instid1(VALU_DEP_2)
	v_add_f64_e32 v[2:3], v[26:27], v[2:3]
	v_add_f64_e32 v[0:1], v[52:53], v[0:1]
	s_delay_alu instid0(VALU_DEP_2) | instskip(NEXT) | instid1(VALU_DEP_2)
	v_add_f64_e32 v[2:3], v[28:29], v[2:3]
	v_add_f64_e32 v[0:1], v[46:47], v[0:1]
	v_add_f64_e64 v[46:47], v[52:53], -v[46:47]
	v_add_f64_e64 v[52:53], v[57:58], -v[61:62]
	v_add_f64_e32 v[56:57], v[30:31], v[42:43]
	v_add_f64_e64 v[30:31], v[30:31], -v[42:43]
	v_add_f64_e32 v[28:29], v[28:29], v[44:45]
	v_add_f64_e32 v[2:3], v[44:45], v[2:3]
	;; [unrolled: 1-line block ×3, first 2 shown]
	v_add_f64_e64 v[42:43], v[26:27], -v[20:21]
	v_add_f64_e32 v[44:45], v[38:39], v[67:68]
	v_add_f64_e64 v[38:39], v[38:39], -v[67:68]
	s_wait_alu 0xfffe
	v_mul_f64_e32 v[82:83], s[36:37], v[46:47]
	v_mul_f64_e32 v[106:107], s[34:35], v[46:47]
	;; [unrolled: 1-line block ×6, first 2 shown]
	v_add_f64_e32 v[2:3], v[20:21], v[2:3]
	v_add_f64_e32 v[0:1], v[65:66], v[0:1]
	v_add_f64_e32 v[20:21], v[26:27], v[20:21]
	v_add_f64_e32 v[26:27], v[40:41], v[65:66]
	v_add_f64_e64 v[40:41], v[40:41], -v[65:66]
	v_add_f64_e32 v[2:3], v[22:23], v[2:3]
	v_add_f64_e32 v[0:1], v[67:68], v[0:1]
	s_delay_alu instid0(VALU_DEP_2) | instskip(NEXT) | instid1(VALU_DEP_2)
	v_add_f64_e32 v[2:3], v[61:62], v[2:3]
	v_add_f64_e32 v[0:1], v[6:7], v[0:1]
	s_delay_alu instid0(VALU_DEP_2) | instskip(NEXT) | instid1(VALU_DEP_2)
	v_add_f64_e32 v[2:3], v[16:17], v[2:3]
	v_add_f64_e32 v[4:5], v[18:19], v[0:1]
	v_mov_b32_e32 v0, v15
	s_delay_alu instid0(VALU_DEP_1) | instskip(NEXT) | instid1(VALU_DEP_1)
	v_mad_co_u64_u32 v[0:1], null, s9, v120, v[0:1]
	v_mov_b32_e32 v15, v0
	v_add_co_u32 v0, vcc_lo, s10, v78
	s_wait_alu 0xfffd
	v_add_co_ci_u32_e32 v1, vcc_lo, s11, v79, vcc_lo
	s_delay_alu instid0(VALU_DEP_3)
	v_lshlrev_b64_e32 v[14:15], 4, v[14:15]
	s_mov_b32 s10, 0xb2365da1
	s_mov_b32 s11, 0xbfd6b1d8
	s_wait_alu 0xfffe
	v_mul_f64_e32 v[184:185], s[10:11], v[48:49]
	v_mul_f64_e32 v[48:49], s[6:7], v[48:49]
	v_add_co_u32 v14, vcc_lo, v0, v14
	s_wait_alu 0xfffd
	v_add_co_ci_u32_e32 v15, vcc_lo, v1, v15, vcc_lo
	v_add_f64_e32 v[2:3], v[32:33], v[2:3]
	global_store_b128 v[14:15], v[2:5], off
	v_add_f64_e32 v[14:15], v[34:35], v[18:19]
	v_add_f64_e64 v[18:19], v[34:35], -v[18:19]
	v_add_f64_e64 v[34:35], v[10:11], -v[32:33]
	v_add_f64_e32 v[10:11], v[10:11], v[32:33]
	v_add_f64_e32 v[32:33], v[36:37], v[6:7]
	v_add_f64_e64 v[6:7], v[36:37], -v[6:7]
	v_add_f64_e64 v[36:37], v[59:60], -v[16:17]
	v_add_f64_e32 v[16:17], v[59:60], v[16:17]
	v_add_f64_e64 v[58:59], v[24:25], -v[22:23]
	v_add_f64_e32 v[22:23], v[24:25], v[22:23]
	v_mul_f64_e32 v[24:25], s[2:3], v[14:15]
	v_mul_f64_e32 v[62:63], s[4:5], v[18:19]
	;; [unrolled: 1-line block ×14, first 2 shown]
	v_fma_f64 v[2:3], v[34:35], s[4:5], v[24:25]
	v_fma_f64 v[4:5], v[36:37], s[30:31], v[60:61]
	v_fma_f64 v[66:67], v[16:17], s[0:1], -v[64:65]
	v_fma_f64 v[90:91], v[16:17], s[10:11], -v[88:89]
	;; [unrolled: 1-line block ×5, first 2 shown]
	v_add_f64_e32 v[2:3], v[12:13], v[2:3]
	s_delay_alu instid0(VALU_DEP_1) | instskip(SKIP_1) | instid1(VALU_DEP_1)
	v_add_f64_e32 v[2:3], v[4:5], v[2:3]
	v_fma_f64 v[4:5], v[10:11], s[2:3], -v[62:63]
	v_add_f64_e32 v[4:5], v[8:9], v[4:5]
	s_delay_alu instid0(VALU_DEP_1) | instskip(SKIP_1) | instid1(VALU_DEP_1)
	v_add_f64_e32 v[4:5], v[66:67], v[4:5]
	v_mul_f64_e32 v[66:67], s[6:7], v[44:45]
	v_fma_f64 v[68:69], v[52:53], s[16:17], v[66:67]
	s_delay_alu instid0(VALU_DEP_1) | instskip(SKIP_1) | instid1(VALU_DEP_1)
	v_add_f64_e32 v[2:3], v[68:69], v[2:3]
	v_mul_f64_e32 v[68:69], s[16:17], v[38:39]
	v_fma_f64 v[70:71], v[54:55], s[6:7], -v[68:69]
	s_delay_alu instid0(VALU_DEP_1) | instskip(SKIP_1) | instid1(VALU_DEP_1)
	v_add_f64_e32 v[4:5], v[70:71], v[4:5]
	v_mul_f64_e32 v[70:71], s[10:11], v[26:27]
	v_fma_f64 v[72:73], v[58:59], s[26:27], v[70:71]
	s_delay_alu instid0(VALU_DEP_1) | instskip(SKIP_1) | instid1(VALU_DEP_1)
	v_add_f64_e32 v[2:3], v[72:73], v[2:3]
	v_mul_f64_e32 v[72:73], s[26:27], v[40:41]
	v_fma_f64 v[74:75], v[22:23], s[10:11], -v[72:73]
	s_delay_alu instid0(VALU_DEP_1) | instskip(SKIP_1) | instid1(VALU_DEP_1)
	v_add_f64_e32 v[4:5], v[74:75], v[4:5]
	v_mul_f64_e32 v[74:75], s[14:15], v[56:57]
	v_fma_f64 v[76:77], v[42:43], s[24:25], v[74:75]
	s_delay_alu instid0(VALU_DEP_1) | instskip(SKIP_1) | instid1(VALU_DEP_1)
	v_add_f64_e32 v[2:3], v[76:77], v[2:3]
	v_mul_f64_e32 v[76:77], s[24:25], v[30:31]
	v_fma_f64 v[78:79], v[20:21], s[14:15], -v[76:77]
	s_delay_alu instid0(VALU_DEP_1) | instskip(SKIP_1) | instid1(VALU_DEP_1)
	v_add_f64_e32 v[78:79], v[78:79], v[4:5]
	v_fma_f64 v[4:5], v[50:51], s[36:37], v[80:81]
	v_add_f64_e32 v[4:5], v[4:5], v[2:3]
	v_fma_f64 v[2:3], v[28:29], s[20:21], -v[82:83]
	s_delay_alu instid0(VALU_DEP_1) | instskip(SKIP_1) | instid1(VALU_DEP_1)
	v_add_f64_e32 v[2:3], v[2:3], v[78:79]
	v_mad_co_u64_u32 v[78:79], null, s8, v119, 0
	v_mad_co_u64_u32 v[84:85], null, s9, v119, v[79:80]
	s_delay_alu instid0(VALU_DEP_1) | instskip(SKIP_1) | instid1(VALU_DEP_2)
	v_mov_b32_e32 v79, v84
	v_mul_f64_e32 v[84:85], s[10:11], v[32:33]
	v_lshlrev_b64_e32 v[78:79], 4, v[78:79]
	s_delay_alu instid0(VALU_DEP_1) | instskip(SKIP_1) | instid1(VALU_DEP_2)
	v_add_co_u32 v78, vcc_lo, v0, v78
	s_wait_alu 0xfffd
	v_add_co_ci_u32_e32 v79, vcc_lo, v1, v79, vcc_lo
	global_store_b128 v[78:79], v[2:5], off
	v_mul_f64_e32 v[78:79], s[0:1], v[14:15]
	v_fma_f64 v[4:5], v[36:37], s[26:27], v[84:85]
	s_delay_alu instid0(VALU_DEP_2) | instskip(NEXT) | instid1(VALU_DEP_1)
	v_fma_f64 v[2:3], v[34:35], s[30:31], v[78:79]
	v_add_f64_e32 v[2:3], v[12:13], v[2:3]
	s_delay_alu instid0(VALU_DEP_1) | instskip(SKIP_1) | instid1(VALU_DEP_1)
	v_add_f64_e32 v[2:3], v[4:5], v[2:3]
	v_fma_f64 v[4:5], v[10:11], s[0:1], -v[86:87]
	v_add_f64_e32 v[4:5], v[8:9], v[4:5]
	s_delay_alu instid0(VALU_DEP_1) | instskip(SKIP_1) | instid1(VALU_DEP_1)
	v_add_f64_e32 v[4:5], v[90:91], v[4:5]
	v_mul_f64_e32 v[90:91], s[20:21], v[44:45]
	v_fma_f64 v[92:93], v[52:53], s[36:37], v[90:91]
	s_delay_alu instid0(VALU_DEP_1) | instskip(SKIP_1) | instid1(VALU_DEP_1)
	v_add_f64_e32 v[2:3], v[92:93], v[2:3]
	v_mul_f64_e32 v[92:93], s[36:37], v[38:39]
	v_fma_f64 v[94:95], v[54:55], s[20:21], -v[92:93]
	s_delay_alu instid0(VALU_DEP_1) | instskip(SKIP_1) | instid1(VALU_DEP_1)
	v_add_f64_e32 v[4:5], v[94:95], v[4:5]
	v_mul_f64_e32 v[94:95], s[14:15], v[26:27]
	v_fma_f64 v[96:97], v[58:59], s[18:19], v[94:95]
	s_delay_alu instid0(VALU_DEP_1) | instskip(SKIP_1) | instid1(VALU_DEP_1)
	v_add_f64_e32 v[2:3], v[96:97], v[2:3]
	v_mul_f64_e32 v[96:97], s[18:19], v[40:41]
	v_fma_f64 v[98:99], v[22:23], s[14:15], -v[96:97]
	s_delay_alu instid0(VALU_DEP_1) | instskip(SKIP_1) | instid1(VALU_DEP_1)
	v_add_f64_e32 v[4:5], v[98:99], v[4:5]
	v_mul_f64_e32 v[98:99], s[6:7], v[56:57]
	v_fma_f64 v[100:101], v[42:43], s[28:29], v[98:99]
	s_delay_alu instid0(VALU_DEP_1) | instskip(SKIP_1) | instid1(VALU_DEP_1)
	v_add_f64_e32 v[2:3], v[100:101], v[2:3]
	v_mul_f64_e32 v[100:101], s[28:29], v[30:31]
	v_fma_f64 v[102:103], v[20:21], s[6:7], -v[100:101]
	s_delay_alu instid0(VALU_DEP_1) | instskip(SKIP_1) | instid1(VALU_DEP_1)
	v_add_f64_e32 v[102:103], v[102:103], v[4:5]
	v_fma_f64 v[4:5], v[50:51], s[34:35], v[104:105]
	v_add_f64_e32 v[4:5], v[4:5], v[2:3]
	v_fma_f64 v[2:3], v[28:29], s[2:3], -v[106:107]
	s_delay_alu instid0(VALU_DEP_1) | instskip(SKIP_1) | instid1(VALU_DEP_1)
	v_add_f64_e32 v[2:3], v[2:3], v[102:103]
	v_mad_co_u64_u32 v[102:103], null, s8, v118, 0
	v_mad_co_u64_u32 v[118:119], null, s9, v118, v[103:104]
	s_delay_alu instid0(VALU_DEP_1) | instskip(SKIP_1) | instid1(VALU_DEP_2)
	v_mov_b32_e32 v103, v118
	v_mul_f64_e32 v[118:119], s[20:21], v[32:33]
	v_lshlrev_b64_e32 v[102:103], 4, v[102:103]
	s_delay_alu instid0(VALU_DEP_1) | instskip(SKIP_1) | instid1(VALU_DEP_2)
	v_add_co_u32 v102, vcc_lo, v0, v102
	s_wait_alu 0xfffd
	v_add_co_ci_u32_e32 v103, vcc_lo, v1, v103, vcc_lo
	global_store_b128 v[102:103], v[2:5], off
	v_mul_f64_e32 v[102:103], s[6:7], v[14:15]
	v_fma_f64 v[4:5], v[36:37], s[36:37], v[118:119]
	s_delay_alu instid0(VALU_DEP_2) | instskip(NEXT) | instid1(VALU_DEP_1)
	v_fma_f64 v[2:3], v[34:35], s[16:17], v[102:103]
	;; [unrolled: 51-line block ×3, first 2 shown]
	v_add_f64_e32 v[2:3], v[12:13], v[2:3]
	s_delay_alu instid0(VALU_DEP_1) | instskip(SKIP_1) | instid1(VALU_DEP_1)
	v_add_f64_e32 v[2:3], v[4:5], v[2:3]
	v_fma_f64 v[4:5], v[10:11], s[10:11], -v[144:145]
	v_add_f64_e32 v[4:5], v[8:9], v[4:5]
	s_delay_alu instid0(VALU_DEP_1) | instskip(SKIP_1) | instid1(VALU_DEP_1)
	v_add_f64_e32 v[4:5], v[148:149], v[4:5]
	v_mul_f64_e32 v[148:149], s[2:3], v[44:45]
	v_fma_f64 v[150:151], v[52:53], s[34:35], v[148:149]
	s_delay_alu instid0(VALU_DEP_1) | instskip(SKIP_1) | instid1(VALU_DEP_1)
	v_add_f64_e32 v[2:3], v[150:151], v[2:3]
	v_mul_f64_e32 v[150:151], s[34:35], v[38:39]
	v_fma_f64 v[152:153], v[54:55], s[2:3], -v[150:151]
	s_delay_alu instid0(VALU_DEP_1) | instskip(SKIP_1) | instid1(VALU_DEP_1)
	v_add_f64_e32 v[4:5], v[152:153], v[4:5]
	v_mul_f64_e32 v[152:153], s[6:7], v[26:27]
	v_fma_f64 v[154:155], v[58:59], s[16:17], v[152:153]
	s_delay_alu instid0(VALU_DEP_1) | instskip(SKIP_1) | instid1(VALU_DEP_1)
	v_add_f64_e32 v[2:3], v[154:155], v[2:3]
	v_mul_f64_e32 v[154:155], s[16:17], v[40:41]
	v_fma_f64 v[156:157], v[22:23], s[6:7], -v[154:155]
	;; [unrolled: 8-line block ×3, first 2 shown]
	s_delay_alu instid0(VALU_DEP_1) | instskip(SKIP_1) | instid1(VALU_DEP_1)
	v_add_f64_e32 v[160:161], v[160:161], v[4:5]
	v_fma_f64 v[4:5], v[50:51], s[38:39], v[162:163]
	v_add_f64_e32 v[4:5], v[4:5], v[2:3]
	v_fma_f64 v[2:3], v[28:29], s[0:1], -v[164:165]
	s_delay_alu instid0(VALU_DEP_1) | instskip(SKIP_1) | instid1(VALU_DEP_1)
	v_add_f64_e32 v[2:3], v[2:3], v[160:161]
	v_mad_co_u64_u32 v[160:161], null, s8, v116, 0
	v_mov_b32_e32 v117, v161
	s_delay_alu instid0(VALU_DEP_1) | instskip(NEXT) | instid1(VALU_DEP_1)
	v_mad_co_u64_u32 v[116:117], null, s9, v116, v[117:118]
	v_mov_b32_e32 v161, v116
	s_delay_alu instid0(VALU_DEP_1) | instskip(SKIP_2) | instid1(VALU_DEP_3)
	v_lshlrev_b64_e32 v[116:117], 4, v[160:161]
	v_mul_f64_e32 v[160:161], s[6:7], v[32:33]
	v_mul_f64_e32 v[32:33], s[2:3], v[32:33]
	v_add_co_u32 v116, vcc_lo, v0, v116
	s_wait_alu 0xfffd
	s_delay_alu instid0(VALU_DEP_4) | instskip(SKIP_4) | instid1(VALU_DEP_3)
	v_add_co_ci_u32_e32 v117, vcc_lo, v1, v117, vcc_lo
	global_store_b128 v[116:117], v[2:5], off
	v_mul_f64_e32 v[116:117], s[14:15], v[14:15]
	v_mul_f64_e32 v[14:15], s[20:21], v[14:15]
	v_fma_f64 v[4:5], v[36:37], s[28:29], v[160:161]
	v_fma_f64 v[2:3], v[34:35], s[24:25], v[116:117]
	s_delay_alu instid0(VALU_DEP_1) | instskip(NEXT) | instid1(VALU_DEP_1)
	v_add_f64_e32 v[2:3], v[12:13], v[2:3]
	v_add_f64_e32 v[2:3], v[4:5], v[2:3]
	v_fma_f64 v[4:5], v[10:11], s[14:15], -v[166:167]
	s_delay_alu instid0(VALU_DEP_1) | instskip(NEXT) | instid1(VALU_DEP_1)
	v_add_f64_e32 v[4:5], v[8:9], v[4:5]
	v_add_f64_e32 v[4:5], v[170:171], v[4:5]
	v_mul_f64_e32 v[170:171], s[0:1], v[44:45]
	v_mul_f64_e32 v[44:45], s[14:15], v[44:45]
	s_delay_alu instid0(VALU_DEP_2) | instskip(NEXT) | instid1(VALU_DEP_1)
	v_fma_f64 v[172:173], v[52:53], s[30:31], v[170:171]
	v_add_f64_e32 v[2:3], v[172:173], v[2:3]
	v_mul_f64_e32 v[172:173], s[30:31], v[38:39]
	v_mul_f64_e32 v[38:39], s[24:25], v[38:39]
	s_delay_alu instid0(VALU_DEP_2) | instskip(NEXT) | instid1(VALU_DEP_1)
	v_fma_f64 v[174:175], v[54:55], s[0:1], -v[172:173]
	v_add_f64_e32 v[4:5], v[174:175], v[4:5]
	v_mul_f64_e32 v[174:175], s[20:21], v[26:27]
	v_mul_f64_e32 v[26:27], s[0:1], v[26:27]
	s_delay_alu instid0(VALU_DEP_2) | instskip(NEXT) | instid1(VALU_DEP_1)
	v_fma_f64 v[176:177], v[58:59], s[22:23], v[174:175]
	v_add_f64_e32 v[2:3], v[176:177], v[2:3]
	v_mul_f64_e32 v[176:177], s[22:23], v[40:41]
	v_mul_f64_e32 v[40:41], s[38:39], v[40:41]
	s_delay_alu instid0(VALU_DEP_2) | instskip(NEXT) | instid1(VALU_DEP_1)
	v_fma_f64 v[178:179], v[22:23], s[20:21], -v[176:177]
	;; [unrolled: 10-line block ×3, first 2 shown]
	v_add_f64_e32 v[182:183], v[182:183], v[4:5]
	v_fma_f64 v[4:5], v[50:51], s[26:27], v[184:185]
	s_delay_alu instid0(VALU_DEP_1) | instskip(SKIP_1) | instid1(VALU_DEP_1)
	v_add_f64_e32 v[4:5], v[4:5], v[2:3]
	v_fma_f64 v[2:3], v[28:29], s[10:11], -v[186:187]
	v_add_f64_e32 v[2:3], v[2:3], v[182:183]
	v_mad_co_u64_u32 v[182:183], null, s8, v115, 0
	s_delay_alu instid0(VALU_DEP_1) | instskip(NEXT) | instid1(VALU_DEP_1)
	v_mad_co_u64_u32 v[188:189], null, s9, v115, v[183:184]
	v_mov_b32_e32 v183, v188
	s_delay_alu instid0(VALU_DEP_1) | instskip(NEXT) | instid1(VALU_DEP_1)
	v_lshlrev_b64_e32 v[182:183], 4, v[182:183]
	v_add_co_u32 v182, vcc_lo, v0, v182
	s_wait_alu 0xfffd
	s_delay_alu instid0(VALU_DEP_2)
	v_add_co_ci_u32_e32 v183, vcc_lo, v1, v183, vcc_lo
	global_store_b128 v[182:183], v[2:5], off
	v_fma_f64 v[2:3], v[34:35], s[36:37], v[14:15]
	v_fma_f64 v[4:5], v[36:37], s[34:35], v[32:33]
	v_fma_f64 v[182:183], v[16:17], s[2:3], -v[6:7]
	v_fma_f64 v[6:7], v[16:17], s[2:3], v[6:7]
	s_delay_alu instid0(VALU_DEP_4) | instskip(NEXT) | instid1(VALU_DEP_1)
	v_add_f64_e32 v[2:3], v[12:13], v[2:3]
	v_add_f64_e32 v[2:3], v[4:5], v[2:3]
	v_fma_f64 v[4:5], v[10:11], s[20:21], -v[18:19]
	s_delay_alu instid0(VALU_DEP_1) | instskip(NEXT) | instid1(VALU_DEP_1)
	v_add_f64_e32 v[4:5], v[8:9], v[4:5]
	v_add_f64_e32 v[4:5], v[182:183], v[4:5]
	v_fma_f64 v[182:183], v[52:53], s[24:25], v[44:45]
	s_delay_alu instid0(VALU_DEP_1) | instskip(SKIP_1) | instid1(VALU_DEP_1)
	v_add_f64_e32 v[2:3], v[182:183], v[2:3]
	v_fma_f64 v[182:183], v[54:55], s[14:15], -v[38:39]
	v_add_f64_e32 v[4:5], v[182:183], v[4:5]
	v_fma_f64 v[182:183], v[58:59], s[38:39], v[26:27]
	s_delay_alu instid0(VALU_DEP_1) | instskip(SKIP_1) | instid1(VALU_DEP_1)
	v_add_f64_e32 v[2:3], v[182:183], v[2:3]
	v_fma_f64 v[182:183], v[22:23], s[0:1], -v[40:41]
	;; [unrolled: 5-line block ×4, first 2 shown]
	v_add_f64_e32 v[2:3], v[2:3], v[182:183]
	v_mad_co_u64_u32 v[182:183], null, s8, v114, 0
	s_delay_alu instid0(VALU_DEP_1) | instskip(NEXT) | instid1(VALU_DEP_1)
	v_mov_b32_e32 v115, v183
	v_mad_co_u64_u32 v[114:115], null, s9, v114, v[115:116]
	s_delay_alu instid0(VALU_DEP_1) | instskip(NEXT) | instid1(VALU_DEP_1)
	v_mov_b32_e32 v183, v114
	v_lshlrev_b64_e32 v[114:115], 4, v[182:183]
	s_delay_alu instid0(VALU_DEP_1) | instskip(SKIP_1) | instid1(VALU_DEP_2)
	v_add_co_u32 v114, vcc_lo, v0, v114
	s_wait_alu 0xfffd
	v_add_co_ci_u32_e32 v115, vcc_lo, v1, v115, vcc_lo
	global_store_b128 v[114:115], v[2:5], off
	v_fma_f64 v[2:3], v[34:35], s[22:23], v[14:15]
	v_fma_f64 v[4:5], v[36:37], s[4:5], v[32:33]
	;; [unrolled: 1-line block ×3, first 2 shown]
	s_delay_alu instid0(VALU_DEP_3) | instskip(NEXT) | instid1(VALU_DEP_1)
	v_add_f64_e32 v[2:3], v[12:13], v[2:3]
	v_add_f64_e32 v[2:3], v[4:5], v[2:3]
	v_fma_f64 v[4:5], v[10:11], s[20:21], v[18:19]
	v_fma_f64 v[18:19], v[28:29], s[14:15], v[140:141]
	s_delay_alu instid0(VALU_DEP_2) | instskip(NEXT) | instid1(VALU_DEP_1)
	v_add_f64_e32 v[4:5], v[8:9], v[4:5]
	v_add_f64_e32 v[4:5], v[6:7], v[4:5]
	v_fma_f64 v[6:7], v[52:53], s[18:19], v[44:45]
	s_delay_alu instid0(VALU_DEP_1) | instskip(SKIP_1) | instid1(VALU_DEP_1)
	v_add_f64_e32 v[2:3], v[6:7], v[2:3]
	v_fma_f64 v[6:7], v[54:55], s[14:15], v[38:39]
	v_add_f64_e32 v[4:5], v[6:7], v[4:5]
	v_fma_f64 v[6:7], v[58:59], s[30:31], v[26:27]
	s_delay_alu instid0(VALU_DEP_1) | instskip(SKIP_1) | instid1(VALU_DEP_1)
	v_add_f64_e32 v[2:3], v[6:7], v[2:3]
	v_fma_f64 v[6:7], v[22:23], s[0:1], v[40:41]
	;; [unrolled: 5-line block ×3, first 2 shown]
	v_add_f64_e32 v[6:7], v[6:7], v[4:5]
	v_fma_f64 v[4:5], v[50:51], s[16:17], v[48:49]
	s_delay_alu instid0(VALU_DEP_1) | instskip(NEXT) | instid1(VALU_DEP_3)
	v_add_f64_e32 v[4:5], v[4:5], v[2:3]
	v_add_f64_e32 v[2:3], v[14:15], v[6:7]
	v_mad_co_u64_u32 v[6:7], null, s8, v113, 0
	s_delay_alu instid0(VALU_DEP_1) | instskip(NEXT) | instid1(VALU_DEP_1)
	v_mad_co_u64_u32 v[14:15], null, s9, v113, v[7:8]
	v_mov_b32_e32 v7, v14
	v_fma_f64 v[14:15], v[28:29], s[10:11], v[186:187]
	s_delay_alu instid0(VALU_DEP_2) | instskip(NEXT) | instid1(VALU_DEP_1)
	v_lshlrev_b64_e32 v[6:7], 4, v[6:7]
	v_add_co_u32 v6, vcc_lo, v0, v6
	s_wait_alu 0xfffd
	s_delay_alu instid0(VALU_DEP_2) | instskip(SKIP_4) | instid1(VALU_DEP_3)
	v_add_co_ci_u32_e32 v7, vcc_lo, v1, v7, vcc_lo
	global_store_b128 v[6:7], v[2:5], off
	v_fma_f64 v[2:3], v[34:35], s[18:19], v[116:117]
	v_fma_f64 v[4:5], v[36:37], s[16:17], v[160:161]
	;; [unrolled: 1-line block ×3, first 2 shown]
	v_add_f64_e32 v[2:3], v[12:13], v[2:3]
	s_delay_alu instid0(VALU_DEP_1) | instskip(SKIP_1) | instid1(VALU_DEP_1)
	v_add_f64_e32 v[2:3], v[4:5], v[2:3]
	v_fma_f64 v[4:5], v[10:11], s[14:15], v[166:167]
	v_add_f64_e32 v[4:5], v[8:9], v[4:5]
	s_delay_alu instid0(VALU_DEP_1) | instskip(SKIP_1) | instid1(VALU_DEP_1)
	v_add_f64_e32 v[4:5], v[6:7], v[4:5]
	v_fma_f64 v[6:7], v[52:53], s[38:39], v[170:171]
	v_add_f64_e32 v[2:3], v[6:7], v[2:3]
	v_fma_f64 v[6:7], v[54:55], s[0:1], v[172:173]
	s_delay_alu instid0(VALU_DEP_1) | instskip(SKIP_1) | instid1(VALU_DEP_1)
	v_add_f64_e32 v[4:5], v[6:7], v[4:5]
	v_fma_f64 v[6:7], v[58:59], s[36:37], v[174:175]
	v_add_f64_e32 v[2:3], v[6:7], v[2:3]
	v_fma_f64 v[6:7], v[22:23], s[20:21], v[176:177]
	;; [unrolled: 5-line block ×3, first 2 shown]
	s_delay_alu instid0(VALU_DEP_1) | instskip(SKIP_1) | instid1(VALU_DEP_1)
	v_add_f64_e32 v[6:7], v[6:7], v[4:5]
	v_fma_f64 v[4:5], v[50:51], s[12:13], v[184:185]
	v_add_f64_e32 v[4:5], v[4:5], v[2:3]
	s_delay_alu instid0(VALU_DEP_3) | instskip(SKIP_1) | instid1(VALU_DEP_1)
	v_add_f64_e32 v[2:3], v[14:15], v[6:7]
	v_mad_co_u64_u32 v[6:7], null, s8, v112, 0
	v_mad_co_u64_u32 v[14:15], null, s9, v112, v[7:8]
	s_delay_alu instid0(VALU_DEP_1) | instskip(SKIP_1) | instid1(VALU_DEP_2)
	v_mov_b32_e32 v7, v14
	v_fma_f64 v[14:15], v[28:29], s[0:1], v[164:165]
	v_lshlrev_b64_e32 v[6:7], 4, v[6:7]
	s_delay_alu instid0(VALU_DEP_1) | instskip(SKIP_1) | instid1(VALU_DEP_2)
	v_add_co_u32 v6, vcc_lo, v0, v6
	s_wait_alu 0xfffd
	v_add_co_ci_u32_e32 v7, vcc_lo, v1, v7, vcc_lo
	global_store_b128 v[6:7], v[2:5], off
	v_fma_f64 v[2:3], v[34:35], s[12:13], v[136:137]
	v_fma_f64 v[4:5], v[36:37], s[24:25], v[142:143]
	;; [unrolled: 1-line block ×3, first 2 shown]
	s_delay_alu instid0(VALU_DEP_3) | instskip(NEXT) | instid1(VALU_DEP_1)
	v_add_f64_e32 v[2:3], v[12:13], v[2:3]
	v_add_f64_e32 v[2:3], v[4:5], v[2:3]
	v_fma_f64 v[4:5], v[10:11], s[10:11], v[144:145]
	s_delay_alu instid0(VALU_DEP_1) | instskip(NEXT) | instid1(VALU_DEP_1)
	v_add_f64_e32 v[4:5], v[8:9], v[4:5]
	v_add_f64_e32 v[4:5], v[6:7], v[4:5]
	v_fma_f64 v[6:7], v[52:53], s[4:5], v[148:149]
	s_delay_alu instid0(VALU_DEP_1) | instskip(SKIP_1) | instid1(VALU_DEP_1)
	v_add_f64_e32 v[2:3], v[6:7], v[2:3]
	v_fma_f64 v[6:7], v[54:55], s[2:3], v[150:151]
	v_add_f64_e32 v[4:5], v[6:7], v[4:5]
	v_fma_f64 v[6:7], v[58:59], s[28:29], v[152:153]
	s_delay_alu instid0(VALU_DEP_1) | instskip(SKIP_1) | instid1(VALU_DEP_1)
	v_add_f64_e32 v[2:3], v[6:7], v[2:3]
	v_fma_f64 v[6:7], v[22:23], s[6:7], v[154:155]
	;; [unrolled: 5-line block ×3, first 2 shown]
	v_add_f64_e32 v[6:7], v[6:7], v[4:5]
	v_fma_f64 v[4:5], v[50:51], s[30:31], v[162:163]
	s_delay_alu instid0(VALU_DEP_1) | instskip(NEXT) | instid1(VALU_DEP_3)
	v_add_f64_e32 v[4:5], v[4:5], v[2:3]
	v_add_f64_e32 v[2:3], v[14:15], v[6:7]
	v_mad_co_u64_u32 v[6:7], null, s8, v111, 0
	s_delay_alu instid0(VALU_DEP_1) | instskip(NEXT) | instid1(VALU_DEP_1)
	v_mad_co_u64_u32 v[14:15], null, s9, v111, v[7:8]
	v_mov_b32_e32 v7, v14
	s_delay_alu instid0(VALU_DEP_1) | instskip(NEXT) | instid1(VALU_DEP_1)
	v_lshlrev_b64_e32 v[6:7], 4, v[6:7]
	v_add_co_u32 v6, vcc_lo, v0, v6
	s_wait_alu 0xfffd
	s_delay_alu instid0(VALU_DEP_2)
	v_add_co_ci_u32_e32 v7, vcc_lo, v1, v7, vcc_lo
	global_store_b128 v[6:7], v[2:5], off
	v_fma_f64 v[2:3], v[34:35], s[28:29], v[102:103]
	v_fma_f64 v[4:5], v[34:35], s[38:39], v[78:79]
	;; [unrolled: 1-line block ×4, first 2 shown]
	s_delay_alu instid0(VALU_DEP_4) | instskip(NEXT) | instid1(VALU_DEP_4)
	v_add_f64_e32 v[2:3], v[12:13], v[2:3]
	v_add_f64_e32 v[14:15], v[12:13], v[4:5]
	s_delay_alu instid0(VALU_DEP_4) | instskip(SKIP_3) | instid1(VALU_DEP_3)
	v_add_f64_e32 v[12:13], v[12:13], v[6:7]
	v_fma_f64 v[4:5], v[10:11], s[6:7], v[120:121]
	v_fma_f64 v[6:7], v[10:11], s[0:1], v[86:87]
	;; [unrolled: 1-line block ×3, first 2 shown]
	v_add_f64_e32 v[4:5], v[8:9], v[4:5]
	s_delay_alu instid0(VALU_DEP_3) | instskip(NEXT) | instid1(VALU_DEP_3)
	v_add_f64_e32 v[6:7], v[8:9], v[6:7]
	v_add_f64_e32 v[10:11], v[8:9], v[10:11]
	v_fma_f64 v[8:9], v[36:37], s[22:23], v[118:119]
	s_delay_alu instid0(VALU_DEP_1) | instskip(SKIP_1) | instid1(VALU_DEP_1)
	v_add_f64_e32 v[2:3], v[8:9], v[2:3]
	v_fma_f64 v[8:9], v[16:17], s[20:21], v[122:123]
	v_add_f64_e32 v[4:5], v[8:9], v[4:5]
	v_fma_f64 v[8:9], v[52:53], s[26:27], v[124:125]
	s_delay_alu instid0(VALU_DEP_1) | instskip(SKIP_1) | instid1(VALU_DEP_1)
	v_add_f64_e32 v[2:3], v[8:9], v[2:3]
	v_fma_f64 v[8:9], v[54:55], s[10:11], v[126:127]
	;; [unrolled: 5-line block ×4, first 2 shown]
	v_add_f64_e32 v[8:9], v[8:9], v[4:5]
	v_fma_f64 v[4:5], v[50:51], s[18:19], v[138:139]
	s_delay_alu instid0(VALU_DEP_1) | instskip(NEXT) | instid1(VALU_DEP_3)
	v_add_f64_e32 v[4:5], v[4:5], v[2:3]
	v_add_f64_e32 v[2:3], v[18:19], v[8:9]
	v_fma_f64 v[8:9], v[36:37], s[12:13], v[84:85]
	v_fma_f64 v[18:19], v[28:29], s[2:3], v[106:107]
	s_delay_alu instid0(VALU_DEP_2) | instskip(SKIP_2) | instid1(VALU_DEP_2)
	v_add_f64_e32 v[8:9], v[8:9], v[14:15]
	v_fma_f64 v[14:15], v[16:17], s[10:11], v[88:89]
	v_fma_f64 v[16:17], v[16:17], s[0:1], v[64:65]
	v_add_f64_e32 v[6:7], v[14:15], v[6:7]
	v_fma_f64 v[14:15], v[52:53], s[22:23], v[90:91]
	s_delay_alu instid0(VALU_DEP_3) | instskip(SKIP_1) | instid1(VALU_DEP_3)
	v_add_f64_e32 v[10:11], v[16:17], v[10:11]
	v_fma_f64 v[16:17], v[22:23], s[10:11], v[72:73]
	v_add_f64_e32 v[8:9], v[14:15], v[8:9]
	v_fma_f64 v[14:15], v[54:55], s[20:21], v[92:93]
	s_delay_alu instid0(VALU_DEP_4) | instskip(NEXT) | instid1(VALU_DEP_2)
	v_add_f64_e32 v[10:11], v[24:25], v[10:11]
	v_add_f64_e32 v[6:7], v[14:15], v[6:7]
	v_fma_f64 v[14:15], v[58:59], s[24:25], v[94:95]
	s_delay_alu instid0(VALU_DEP_3) | instskip(SKIP_1) | instid1(VALU_DEP_3)
	v_add_f64_e32 v[10:11], v[16:17], v[10:11]
	v_fma_f64 v[16:17], v[28:29], s[20:21], v[82:83]
	v_add_f64_e32 v[8:9], v[14:15], v[8:9]
	v_fma_f64 v[14:15], v[22:23], s[14:15], v[96:97]
	s_delay_alu instid0(VALU_DEP_1) | instskip(SKIP_1) | instid1(VALU_DEP_1)
	v_add_f64_e32 v[6:7], v[14:15], v[6:7]
	v_fma_f64 v[14:15], v[42:43], s[16:17], v[98:99]
	v_add_f64_e32 v[8:9], v[14:15], v[8:9]
	v_fma_f64 v[14:15], v[20:21], s[6:7], v[100:101]
	v_fma_f64 v[20:21], v[20:21], s[14:15], v[76:77]
	s_delay_alu instid0(VALU_DEP_2) | instskip(SKIP_1) | instid1(VALU_DEP_3)
	v_add_f64_e32 v[6:7], v[14:15], v[6:7]
	v_fma_f64 v[14:15], v[50:51], s[4:5], v[104:105]
	v_add_f64_e32 v[10:11], v[20:21], v[10:11]
	s_delay_alu instid0(VALU_DEP_3) | instskip(NEXT) | instid1(VALU_DEP_3)
	v_add_f64_e32 v[6:7], v[18:19], v[6:7]
	v_add_f64_e32 v[8:9], v[14:15], v[8:9]
	v_fma_f64 v[14:15], v[36:37], s[38:39], v[60:61]
	v_fma_f64 v[18:19], v[52:53], s[28:29], v[66:67]
	v_add_f64_e32 v[10:11], v[16:17], v[10:11]
	s_delay_alu instid0(VALU_DEP_3) | instskip(SKIP_1) | instid1(VALU_DEP_2)
	v_add_f64_e32 v[12:13], v[14:15], v[12:13]
	v_fma_f64 v[14:15], v[58:59], s[12:13], v[70:71]
	v_add_f64_e32 v[12:13], v[18:19], v[12:13]
	v_fma_f64 v[18:19], v[42:43], s[18:19], v[74:75]
	s_delay_alu instid0(VALU_DEP_2) | instskip(SKIP_1) | instid1(VALU_DEP_2)
	v_add_f64_e32 v[12:13], v[14:15], v[12:13]
	v_fma_f64 v[14:15], v[50:51], s[22:23], v[80:81]
	v_add_f64_e32 v[12:13], v[18:19], v[12:13]
	s_delay_alu instid0(VALU_DEP_1) | instskip(SKIP_1) | instid1(VALU_DEP_1)
	v_add_f64_e32 v[12:13], v[14:15], v[12:13]
	v_mad_co_u64_u32 v[14:15], null, s8, v110, 0
	v_mad_co_u64_u32 v[15:16], null, s9, v110, v[15:16]
	;; [unrolled: 1-line block ×3, first 2 shown]
	s_delay_alu instid0(VALU_DEP_2) | instskip(NEXT) | instid1(VALU_DEP_2)
	v_lshlrev_b64_e32 v[14:15], 4, v[14:15]
	v_mad_co_u64_u32 v[17:18], null, s9, v109, v[17:18]
	v_mad_co_u64_u32 v[18:19], null, s8, v108, 0
	s_delay_alu instid0(VALU_DEP_3) | instskip(SKIP_1) | instid1(VALU_DEP_4)
	v_add_co_u32 v14, vcc_lo, v0, v14
	s_wait_alu 0xfffd
	v_add_co_ci_u32_e32 v15, vcc_lo, v1, v15, vcc_lo
	s_delay_alu instid0(VALU_DEP_4) | instskip(NEXT) | instid1(VALU_DEP_4)
	v_lshlrev_b64_e32 v[16:17], 4, v[16:17]
	v_mad_co_u64_u32 v[19:20], null, s9, v108, v[19:20]
	s_delay_alu instid0(VALU_DEP_2) | instskip(SKIP_1) | instid1(VALU_DEP_3)
	v_add_co_u32 v16, vcc_lo, v0, v16
	s_wait_alu 0xfffd
	v_add_co_ci_u32_e32 v17, vcc_lo, v1, v17, vcc_lo
	s_delay_alu instid0(VALU_DEP_3) | instskip(NEXT) | instid1(VALU_DEP_1)
	v_lshlrev_b64_e32 v[18:19], 4, v[18:19]
	v_add_co_u32 v0, vcc_lo, v0, v18
	s_wait_alu 0xfffd
	s_delay_alu instid0(VALU_DEP_2)
	v_add_co_ci_u32_e32 v1, vcc_lo, v1, v19, vcc_lo
	s_clause 0x2
	global_store_b128 v[14:15], v[2:5], off
	global_store_b128 v[16:17], v[6:9], off
	;; [unrolled: 1-line block ×3, first 2 shown]
	s_nop 0
	s_sendmsg sendmsg(MSG_DEALLOC_VGPRS)
	s_endpgm
	.section	.rodata,"a",@progbits
	.p2align	6, 0x0
	.amdhsa_kernel fft_rtc_fwd_len1859_factors_13_11_13_wgs_169_tpt_169_halfLds_dp_ip_CI_sbrr_dirReg
		.amdhsa_group_segment_fixed_size 0
		.amdhsa_private_segment_fixed_size 0
		.amdhsa_kernarg_size 88
		.amdhsa_user_sgpr_count 2
		.amdhsa_user_sgpr_dispatch_ptr 0
		.amdhsa_user_sgpr_queue_ptr 0
		.amdhsa_user_sgpr_kernarg_segment_ptr 1
		.amdhsa_user_sgpr_dispatch_id 0
		.amdhsa_user_sgpr_private_segment_size 0
		.amdhsa_wavefront_size32 1
		.amdhsa_uses_dynamic_stack 0
		.amdhsa_enable_private_segment 0
		.amdhsa_system_sgpr_workgroup_id_x 1
		.amdhsa_system_sgpr_workgroup_id_y 0
		.amdhsa_system_sgpr_workgroup_id_z 0
		.amdhsa_system_sgpr_workgroup_info 0
		.amdhsa_system_vgpr_workitem_id 0
		.amdhsa_next_free_vgpr 190
		.amdhsa_next_free_sgpr 45
		.amdhsa_reserve_vcc 1
		.amdhsa_float_round_mode_32 0
		.amdhsa_float_round_mode_16_64 0
		.amdhsa_float_denorm_mode_32 3
		.amdhsa_float_denorm_mode_16_64 3
		.amdhsa_fp16_overflow 0
		.amdhsa_workgroup_processor_mode 1
		.amdhsa_memory_ordered 1
		.amdhsa_forward_progress 0
		.amdhsa_round_robin_scheduling 0
		.amdhsa_exception_fp_ieee_invalid_op 0
		.amdhsa_exception_fp_denorm_src 0
		.amdhsa_exception_fp_ieee_div_zero 0
		.amdhsa_exception_fp_ieee_overflow 0
		.amdhsa_exception_fp_ieee_underflow 0
		.amdhsa_exception_fp_ieee_inexact 0
		.amdhsa_exception_int_div_zero 0
	.end_amdhsa_kernel
	.text
.Lfunc_end0:
	.size	fft_rtc_fwd_len1859_factors_13_11_13_wgs_169_tpt_169_halfLds_dp_ip_CI_sbrr_dirReg, .Lfunc_end0-fft_rtc_fwd_len1859_factors_13_11_13_wgs_169_tpt_169_halfLds_dp_ip_CI_sbrr_dirReg
                                        ; -- End function
	.section	.AMDGPU.csdata,"",@progbits
; Kernel info:
; codeLenInByte = 12644
; NumSgprs: 47
; NumVgprs: 190
; ScratchSize: 0
; MemoryBound: 1
; FloatMode: 240
; IeeeMode: 1
; LDSByteSize: 0 bytes/workgroup (compile time only)
; SGPRBlocks: 5
; VGPRBlocks: 23
; NumSGPRsForWavesPerEU: 47
; NumVGPRsForWavesPerEU: 190
; Occupancy: 8
; WaveLimiterHint : 1
; COMPUTE_PGM_RSRC2:SCRATCH_EN: 0
; COMPUTE_PGM_RSRC2:USER_SGPR: 2
; COMPUTE_PGM_RSRC2:TRAP_HANDLER: 0
; COMPUTE_PGM_RSRC2:TGID_X_EN: 1
; COMPUTE_PGM_RSRC2:TGID_Y_EN: 0
; COMPUTE_PGM_RSRC2:TGID_Z_EN: 0
; COMPUTE_PGM_RSRC2:TIDIG_COMP_CNT: 0
	.text
	.p2alignl 7, 3214868480
	.fill 96, 4, 3214868480
	.type	__hip_cuid_94e094b393cde461,@object ; @__hip_cuid_94e094b393cde461
	.section	.bss,"aw",@nobits
	.globl	__hip_cuid_94e094b393cde461
__hip_cuid_94e094b393cde461:
	.byte	0                               ; 0x0
	.size	__hip_cuid_94e094b393cde461, 1

	.ident	"AMD clang version 19.0.0git (https://github.com/RadeonOpenCompute/llvm-project roc-6.4.0 25133 c7fe45cf4b819c5991fe208aaa96edf142730f1d)"
	.section	".note.GNU-stack","",@progbits
	.addrsig
	.addrsig_sym __hip_cuid_94e094b393cde461
	.amdgpu_metadata
---
amdhsa.kernels:
  - .args:
      - .actual_access:  read_only
        .address_space:  global
        .offset:         0
        .size:           8
        .value_kind:     global_buffer
      - .offset:         8
        .size:           8
        .value_kind:     by_value
      - .actual_access:  read_only
        .address_space:  global
        .offset:         16
        .size:           8
        .value_kind:     global_buffer
      - .actual_access:  read_only
        .address_space:  global
        .offset:         24
        .size:           8
        .value_kind:     global_buffer
      - .offset:         32
        .size:           8
        .value_kind:     by_value
      - .actual_access:  read_only
        .address_space:  global
        .offset:         40
        .size:           8
        .value_kind:     global_buffer
      - .actual_access:  read_only
        .address_space:  global
        .offset:         48
        .size:           8
        .value_kind:     global_buffer
      - .offset:         56
        .size:           4
        .value_kind:     by_value
      - .actual_access:  read_only
        .address_space:  global
        .offset:         64
        .size:           8
        .value_kind:     global_buffer
      - .actual_access:  read_only
        .address_space:  global
        .offset:         72
        .size:           8
        .value_kind:     global_buffer
      - .address_space:  global
        .offset:         80
        .size:           8
        .value_kind:     global_buffer
    .group_segment_fixed_size: 0
    .kernarg_segment_align: 8
    .kernarg_segment_size: 88
    .language:       OpenCL C
    .language_version:
      - 2
      - 0
    .max_flat_workgroup_size: 169
    .name:           fft_rtc_fwd_len1859_factors_13_11_13_wgs_169_tpt_169_halfLds_dp_ip_CI_sbrr_dirReg
    .private_segment_fixed_size: 0
    .sgpr_count:     47
    .sgpr_spill_count: 0
    .symbol:         fft_rtc_fwd_len1859_factors_13_11_13_wgs_169_tpt_169_halfLds_dp_ip_CI_sbrr_dirReg.kd
    .uniform_work_group_size: 1
    .uses_dynamic_stack: false
    .vgpr_count:     190
    .vgpr_spill_count: 0
    .wavefront_size: 32
    .workgroup_processor_mode: 1
amdhsa.target:   amdgcn-amd-amdhsa--gfx1201
amdhsa.version:
  - 1
  - 2
...

	.end_amdgpu_metadata
